;; amdgpu-corpus repo=ROCm/aiter kind=harvested arch=n/a opt=n/a

/root/src/amdgpu-assembly/repos/ROCm__aiter/hsa/gfx942/fmha_v3_bwd/bwd_hd128_bf16_causal_br_a32_rtna_psskddv.co:	file format elf64-amdgpu

Disassembly of section .text:

0000000000003e00 <_ZN5aiter46fmha_bwd_hd128_bf16_causal_br_a32_rtna_psskddvE>:
	s_and_b32 s1, s1, 0xffff                                   // 000000003E00: 8601FF01 0000FFFF
	s_load_dwordx2 s[32:33], s[0:1], 0x0                       // 000000003E08: C0060800 00000000
	s_load_dwordx2 s[36:37], s[0:1], 0x10                      // 000000003E10: C0060900 00000010
	s_load_dwordx2 s[40:41], s[0:1], 0x20                      // 000000003E18: C0060A00 00000020
	s_load_dwordx2 s[8:9], s[0:1], 0x30                        // 000000003E20: C0060200 00000030
	s_load_dwordx2 s[12:13], s[0:1], 0x40                      // 000000003E28: C0060300 00000040
	s_load_dwordx2 s[16:17], s[0:1], 0x50                      // 000000003E30: C0060400 00000050
	s_load_dwordx2 s[20:21], s[0:1], 0x60                      // 000000003E38: C0060500 00000060
	s_load_dwordx2 s[24:25], s[0:1], 0x70                      // 000000003E40: C0060600 00000070
	s_load_dwordx2 s[28:29], s[0:1], 0x80                      // 000000003E48: C0060700 00000080
	s_load_dword s47, s[0:1], 0x90                             // 000000003E50: C0020BC0 00000090
	s_load_dword s48, s[0:1], 0xa0                             // 000000003E58: C0020C00 000000A0
	s_load_dword s49, s[0:1], 0xb0                             // 000000003E60: C0020C40 000000B0
	s_load_dword s78, s[0:1], 0xd0                             // 000000003E68: C0021380 000000D0
	s_load_dword s79, s[0:1], 0xe0                             // 000000003E70: C00213C0 000000E0
	s_load_dword s5, s[0:1], 0xf0                              // 000000003E78: C0020140 000000F0
	s_load_dword s44, s[0:1], 0x100                            // 000000003E80: C0020B00 00000100
	s_load_dword s80, s[0:1], 0x110                            // 000000003E88: C0021400 00000110
	s_load_dword s81, s[0:1], 0x120                            // 000000003E90: C0021440 00000120
	s_load_dword s6, s[0:1], 0x130                             // 000000003E98: C0020180 00000130
	s_load_dword s52, s[0:1], 0x140                            // 000000003EA0: C0020D00 00000140
	s_load_dword s50, s[0:1], 0x150                            // 000000003EA8: C0020C80 00000150
	s_load_dword s98, s[0:1], 0x160                            // 000000003EB0: C0021880 00000160
	s_load_dword s72, s[0:1], 0x180                            // 000000003EB8: C0021200 00000180
	s_load_dword s90, s[0:1], 0x190                            // 000000003EC0: C0021680 00000190
	s_load_dword s91, s[0:1], 0x1a0                            // 000000003EC8: C00216C0 000001A0
	s_load_dword s7, s[0:1], 0x1b0                             // 000000003ED0: C00201C0 000001B0
	s_load_dword s92, s[0:1], 0x1c0                            // 000000003ED8: C0021700 000001C0
	s_load_dword s93, s[0:1], 0x1d0                            // 000000003EE0: C0021740 000001D0
	s_load_dword s51, s[0:1], 0x1e0                            // 000000003EE8: C0020CC0 000001E0
	s_load_dword s94, s[0:1], 0x1f0                            // 000000003EF0: C0021780 000001F0
	s_load_dword s95, s[0:1], 0x200                            // 000000003EF8: C00217C0 00000200
	s_load_dword s96, s[0:1], 0x210                            // 000000003F00: C0021800 00000210
	s_load_dword s97, s[0:1], 0x220                            // 000000003F08: C0021840 00000220
	s_load_dword s53, s[0:1], 0x230                            // 000000003F10: C0020D40 00000230
	v_lshrrev_b32_e32 v1, 10, v0                               // 000000003F18: 2002008A
	v_lshrrev_b32_e32 v2, 10, v1                               // 000000003F1C: 2004028A
	v_and_b32_e32 v2, 0x3ff, v2                                // 000000003F20: 260404FF 000003FF
	v_and_b32_e32 v1, 0x3ff, v1                                // 000000003F28: 260202FF 000003FF
	v_and_b32_e32 v0, 0x3ff, v0                                // 000000003F30: 260000FF 000003FF
	v_lshrrev_b32_e32 v3, 6, v0                                // 000000003F38: 20060086
	v_and_b32_e32 v0, 63, v0                                   // 000000003F3C: 260000BF
	s_mov_b32 s2, s2                                           // 000000003F40: BE820002
	s_mov_b32 s3, s3                                           // 000000003F44: BE830003
	s_mov_b32 s4, s4                                           // 000000003F48: BE840004
	v_readfirstlane_b32 s46, v3                                // 000000003F4C: 7E5C0503
	s_waitcnt lgkmcnt(0)                                       // 000000003F50: BF8CC07F
	s_mov_b32 s11, 0x20000                                     // 000000003F54: BE8B00FF 00020000
	s_mov_b32 s15, 0x20000                                     // 000000003F5C: BE8F00FF 00020000
	s_mov_b32 s19, 0x20000                                     // 000000003F64: BE9300FF 00020000
	s_mov_b32 s23, 0x20000                                     // 000000003F6C: BE9700FF 00020000
	s_mov_b32 s27, 0x20000                                     // 000000003F74: BE9B00FF 00020000
	s_mov_b32 s31, 0x20000                                     // 000000003F7C: BE9F00FF 00020000
	s_mov_b32 s35, 0x20000                                     // 000000003F84: BEA300FF 00020000
	s_mov_b32 s39, 0x20000                                     // 000000003F8C: BEA700FF 00020000
	s_mov_b32 s43, 0x20000                                     // 000000003F94: BEAB00FF 00020000
	s_and_b32 s9, s9, 0xffff                                   // 000000003F9C: 8609FF09 0000FFFF
	s_and_b32 s13, s13, 0xffff                                 // 000000003FA4: 860DFF0D 0000FFFF
	s_and_b32 s17, s17, 0xffff                                 // 000000003FAC: 8611FF11 0000FFFF
	s_and_b32 s21, s21, 0xffff                                 // 000000003FB4: 8615FF15 0000FFFF
	s_and_b32 s25, s25, 0xffff                                 // 000000003FBC: 8619FF19 0000FFFF
	s_and_b32 s29, s29, 0xffff                                 // 000000003FC4: 861DFF1D 0000FFFF
	s_and_b32 s33, s33, 0xffff                                 // 000000003FCC: 8621FF21 0000FFFF
	s_and_b32 s37, s37, 0xffff                                 // 000000003FD4: 8625FF25 0000FFFF
	s_and_b32 s41, s41, 0xffff                                 // 000000003FDC: 8629FF29 0000FFFF
	s_or_b32 s9, s9, 0x40000                                   // 000000003FE4: 8709FF09 00040000
	s_or_b32 s13, s13, 0x40000                                 // 000000003FEC: 870DFF0D 00040000
	s_or_b32 s17, s17, 0x40000                                 // 000000003FF4: 8711FF11 00040000
	s_or_b32 s21, s21, 0x40000                                 // 000000003FFC: 8715FF15 00040000
	s_or_b32 s25, s25, 0x40000                                 // 000000004004: 8719FF19 00040000
	s_or_b32 s29, s29, 0x40000                                 // 00000000400C: 871DFF1D 00040000
	s_or_b32 s33, s33, 0x40000                                 // 000000004014: 8721FF21 00040000
	s_or_b32 s37, s37, 0x40000                                 // 00000000401C: 8725FF25 00040000
	s_or_b32 s41, s41, 0x40000                                 // 000000004024: 8729FF29 00040000
	v_accvgpr_write_b32 a255, 0                                // 00000000402C: D3D940FF 18000080
	v_mov_b32_e32 v255, 0                                      // 000000004034: 7FFE0280
	s_mov_b32 s71, s3                                          // 000000004038: BEC70003
	v_cvt_f32_u32_e32 v28, s44                                 // 00000000403C: 7E380C2C
	s_sub_i32 s60, 0, s44                                      // 000000004040: 81BC2C80
	v_rcp_iflag_f32_e32 v28, v28                               // 000000004044: 7E38471C
	s_nop 0                                                    // 000000004048: BF800000
	v_mul_f32_e32 v28, 0x4f7ffffe, v28                         // 00000000404C: 0A3838FF 4F7FFFFE
	v_cvt_u32_f32_e32 v28, v28                                 // 000000004054: 7E380F1C
	v_mul_lo_u32 v29, s60, v28                                 // 000000004058: D285001D 0002383C
	v_mul_hi_u32 v29, v28, v29                                 // 000000004060: D286001D 00023B1C
	v_add_u32_e32 v28, v28, v29                                // 000000004068: 68383B1C
	v_mul_hi_u32 v28, s71, v28                                 // 00000000406C: D286001C 00023847
	v_mul_lo_u32 v29, v28, s44                                 // 000000004074: D285001D 0000591C
	v_sub_u32_e32 v31, s71, v29                                // 00000000407C: 6A3E3A47
	v_add_u32_e32 v30, 1, v28                                  // 000000004080: 683C3881
	v_cmp_le_u32_e32 vcc, s44, v31                             // 000000004084: 7D963E2C
	v_subrev_u32_e32 v29, s44, v31                             // 000000004088: 6C3A3E2C
	s_nop 0                                                    // 00000000408C: BF800000
	v_cndmask_b32_e32 v28, v28, v30, vcc                       // 000000004090: 00383D1C
	v_cndmask_b32_e32 v31, v31, v29, vcc                       // 000000004094: 003E3B1F
	v_add_u32_e32 v29, 1, v28                                  // 000000004098: 683A3881
	v_cmp_le_u32_e32 vcc, s44, v31                             // 00000000409C: 7D963E2C
	s_nop 1                                                    // 0000000040A0: BF800001
	v_cndmask_b32_e32 v31, v28, v29, vcc                       // 0000000040A4: 003E3B1C
	s_nop 3                                                    // 0000000040A8: BF800003
	v_readfirstlane_b32 s45, v31                               // 0000000040AC: 7E5A051F
	s_nop 3                                                    // 0000000040B0: BF800003
	s_mul_i32 s61, s45, s80                                    // 0000000040B4: 923D502D
	s_mov_b32 s54, s61                                         // 0000000040B8: BEB6003D
	s_add_u32 s12, s54, s12                                    // 0000000040BC: 800C0C36
	s_addc_u32 s13, 0, s13                                     // 0000000040C0: 820D0D80
	s_mul_i32 s60, s4, s81                                     // 0000000040C4: 923C5104
	s_mul_hi_u32 s61, s4, s81                                  // 0000000040C8: 963D5104
	s_and_b32 s61, s61, 0xffff                                 // 0000000040CC: 863DFF3D 0000FFFF
	s_add_u32 s12, s12, s60                                    // 0000000040D4: 800C3C0C
	s_addc_u32 s13, s13, s61                                   // 0000000040D8: 820D3D0D
	s_mul_i32 s61, s45, s90                                    // 0000000040DC: 923D5A2D
	s_mov_b32 s54, s61                                         // 0000000040E0: BEB6003D
	s_add_u32 s16, s54, s16                                    // 0000000040E4: 80101036
	s_addc_u32 s17, 0, s17                                     // 0000000040E8: 82111180
	s_mul_i32 s60, s4, s91                                     // 0000000040EC: 923C5B04
	s_mul_hi_u32 s61, s4, s91                                  // 0000000040F0: 963D5B04
	s_and_b32 s61, s61, 0xffff                                 // 0000000040F4: 863DFF3D 0000FFFF
	s_add_u32 s16, s16, s60                                    // 0000000040FC: 80103C10
	s_addc_u32 s17, s17, s61                                   // 000000004100: 82113D11
	s_mul_i32 s61, s3, s78                                     // 000000004104: 923D4E03
	s_mov_b32 s55, s61                                         // 000000004108: BEB7003D
	s_add_u32 s8, s55, s8                                      // 00000000410C: 80080837
	s_addc_u32 s9, 0, s9                                       // 000000004110: 82090980
	s_mul_i32 s60, s4, s79                                     // 000000004114: 923C4F04
	s_mul_hi_u32 s61, s4, s79                                  // 000000004118: 963D4F04
	s_and_b32 s61, s61, 0xffff                                 // 00000000411C: 863DFF3D 0000FFFF
	s_add_u32 s8, s8, s60                                      // 000000004124: 80083C08
	s_addc_u32 s9, s9, s61                                     // 000000004128: 82093D09
	s_mul_i32 s61, s3, s92                                     // 00000000412C: 923D5C03
	s_mov_b32 s56, s61                                         // 000000004130: BEB8003D
	s_add_u32 s20, s56, s20                                    // 000000004134: 80141438
	s_addc_u32 s21, 0, s21                                     // 000000004138: 82151580
	s_mul_i32 s60, s4, s93                                     // 00000000413C: 923C5D04
	s_mul_hi_u32 s61, s4, s93                                  // 000000004140: 963D5D04
	s_and_b32 s61, s61, 0xffff                                 // 000000004144: 863DFF3D 0000FFFF
	s_add_u32 s20, s20, s60                                    // 00000000414C: 80143C14
	s_addc_u32 s21, s21, s61                                   // 000000004150: 82153D15
	s_mul_i32 s62, s4, s72                                     // 000000004154: 923E4804
	s_mul_i32 s62, s62, s49                                    // 000000004158: 923E313E
	s_lshl_b32 s62, s62, 2                                     // 00000000415C: 8E3E823E
	s_mul_i32 s61, s3, s49                                     // 000000004160: 923D3103
	s_mul_i32 s61, 4, s61                                      // 000000004164: 923D3D84
	s_add_u32 s65, s61, s62                                    // 000000004168: 80413E3D
	s_mov_b32 s26, s49                                         // 00000000416C: BE9A0031
	s_mov_b32 s30, s49                                         // 000000004170: BE9E0031
	s_add_u32 s24, s65, s24                                    // 000000004174: 80181841
	s_addc_u32 s25, 0, s25                                     // 000000004178: 82191980
	s_add_u32 s28, s65, s28                                    // 00000000417C: 801C1C41
	s_addc_u32 s29, 0, s29                                     // 000000004180: 821D1D80
	s_mul_i32 s61, s3, s94                                     // 000000004184: 923D5E03
	s_mul_i32 s62, s4, s95                                     // 000000004188: 923E5F04
	s_add_u32 s60, s61, s62                                    // 00000000418C: 803C3E3D
	s_mul_hi_u32 s61, s4, s95                                  // 000000004190: 963D5F04
	s_and_b32 s61, s61, 0xffff                                 // 000000004194: 863DFF3D 0000FFFF
	s_add_u32 s36, s60, s36                                    // 00000000419C: 8024243C
	s_addc_u32 s37, s61, s37                                   // 0000000041A0: 8225253D
	s_mul_i32 s60, s50, s52                                    // 0000000041A4: 923C3432
	s_lshr_b32 s60, s60, 2                                     // 0000000041A8: 8F3C823C
	s_mov_b32 s38, s60                                         // 0000000041AC: BEA6003C
	s_mul_i32 s61, s3, s96                                     // 0000000041B0: 923D6003
	s_mul_i32 s62, s4, s97                                     // 0000000041B4: 923E6104
	s_add_u32 s60, s61, s62                                    // 0000000041B8: 803C3E3D
	s_mul_hi_u32 s61, s4, s97                                  // 0000000041BC: 963D6104
	s_and_b32 s61, s61, 0xffff                                 // 0000000041C0: 863DFF3D 0000FFFF
	s_add_u32 s40, s60, s40                                    // 0000000041C8: 8028283C
	s_addc_u32 s41, s61, s41                                   // 0000000041CC: 8229293D
	s_mul_i32 s60, s50, s53                                    // 0000000041D0: 923C3532
	s_lshr_b32 s60, s60, 2                                     // 0000000041D4: 8F3C823C
	s_mov_b32 s42, s60                                         // 0000000041D8: BEAA003C
	s_mul_i32 s60, s98, s65                                    // 0000000041DC: 923C4162
	s_mul_hi_u32 s62, s98, s65                                 // 0000000041E0: 963E4162
	s_and_b32 s62, s62, 0xffff                                 // 0000000041E4: 863EFF3E 0000FFFF
	s_add_u32 s32, s60, s32                                    // 0000000041EC: 8020203C
	s_addc_u32 s33, s62, s33                                   // 0000000041F0: 8221213E
	s_mul_i32 s60, s98, s49                                    // 0000000041F4: 923C3162
	s_lshl_b32 s60, s60, 2                                     // 0000000041F8: 8E3C823C
	s_mov_b32 s34, s60                                         // 0000000041FC: BEA2003C
	s_mov_b32 s82, s8                                          // 000000004200: BED20008
	s_mov_b32 s84, s12                                         // 000000004204: BED4000C
	s_mov_b32 s86, s16                                         // 000000004208: BED60010
	s_mov_b32 s88, s20                                         // 00000000420C: BED80014
	s_mov_b32 s83, s9                                          // 000000004210: BED30009
	s_mov_b32 s85, s13                                         // 000000004214: BED5000D
	s_mov_b32 s87, s17                                         // 000000004218: BED70011
	s_mov_b32 s89, s21                                         // 00000000421C: BED90015
	s_add_u32 s71, 0xbf, s50                                   // 000000004220: 804732FF 000000BF
	s_mov_b32 s74, 0xc0                                        // 000000004228: BECA00FF 000000C0
	v_cvt_f32_u32_e32 v28, s74                                 // 000000004230: 7E380C4A
	s_sub_i32 s60, 0, s74                                      // 000000004234: 81BC4A80
	v_rcp_iflag_f32_e32 v28, v28                               // 000000004238: 7E38471C
	s_nop 0                                                    // 00000000423C: BF800000
	v_mul_f32_e32 v28, 0x4f7ffffe, v28                         // 000000004240: 0A3838FF 4F7FFFFE
	v_cvt_u32_f32_e32 v28, v28                                 // 000000004248: 7E380F1C
	v_mul_lo_u32 v29, s60, v28                                 // 00000000424C: D285001D 0002383C
	v_mul_hi_u32 v29, v28, v29                                 // 000000004254: D286001D 00023B1C
	v_add_u32_e32 v28, v28, v29                                // 00000000425C: 68383B1C
	v_mul_hi_u32 v28, s71, v28                                 // 000000004260: D286001C 00023847
	v_mul_lo_u32 v29, v28, s74                                 // 000000004268: D285001D 0000951C
	v_sub_u32_e32 v31, s71, v29                                // 000000004270: 6A3E3A47
	v_add_u32_e32 v30, 1, v28                                  // 000000004274: 683C3881
	v_cmp_le_u32_e32 vcc, s74, v31                             // 000000004278: 7D963E4A
	v_subrev_u32_e32 v29, s74, v31                             // 00000000427C: 6C3A3E4A
	s_nop 0                                                    // 000000004280: BF800000
	v_cndmask_b32_e32 v28, v28, v30, vcc                       // 000000004284: 00383D1C
	v_cndmask_b32_e32 v31, v31, v29, vcc                       // 000000004288: 003E3B1F
	v_add_u32_e32 v29, 1, v28                                  // 00000000428C: 683A3881
	v_cmp_le_u32_e32 vcc, s74, v31                             // 000000004290: 7D963E4A
	s_nop 1                                                    // 000000004294: BF800001
	v_cndmask_b32_e32 v31, v28, v29, vcc                       // 000000004298: 003E3B1C
	s_nop 3                                                    // 00000000429C: BF800003
	v_readfirstlane_b32 s77, v31                               // 0000000042A0: 7E9A051F
	s_nop 3                                                    // 0000000042A4: BF800003
	v_mov_b32_e32 v28, s47                                     // 0000000042A8: 7E38022F
	v_mul_f32_e32 v28, s48, v28                                // 0000000042AC: 0A383830
	s_mov_b32 s58, s49                                         // 0000000042B0: BEBA0031
	s_mov_b32 s59, 0                                           // 0000000042B4: BEBB0080
	s_mov_b32 s63, 0x5040100                                   // 0000000042B8: BEBF00FF 05040100
	s_mov_b32 s64, 0x7060302                                   // 0000000042C0: BEC000FF 07060302
	v_readfirstlane_b32 s57, v28                               // 0000000042C8: 7E72051C
	v_mov_b32_e32 v30, 0x3020706                               // 0000000042CC: 7E3C02FF 03020706
	v_mov_b32_e32 v28, s63                                     // 0000000042D4: 7E38023F
	v_and_b32_e32 v29, 1, v0                                   // 0000000042D8: 263A0081
	v_cmp_eq_u32_e32 vcc, 1, v29                               // 0000000042DC: 7D943A81
	s_mul_i32 s60, s98, 64                                     // 0000000042E0: 923CC062
	s_mov_b32 s67, s60                                         // 0000000042E4: BEC3003C
	v_cndmask_b32_e32 v15, v28, v30, vcc                       // 0000000042E8: 001E3D1C
	v_mov_b32_e32 v249, 0xffff0000                             // 0000000042EC: 7FF202FF FFFF0000
	v_mov_b32_e32 v250, 0x7fff0000                             // 0000000042F4: 7FF402FF 7FFF0000
	v_mov_b32_e32 v251, 0x7fff                                 // 0000000042FC: 7FF602FF 00007FFF
	s_cmp_lt_u32 s46, 2                                        // 000000004304: BF0A822E
	s_cselect_b32 s24, s24, s28                                // 000000004308: 85181C18
	s_cselect_b32 s25, s25, s29                                // 00000000430C: 85191D19
	s_cselect_b32 s26, s26, s30                                // 000000004310: 851A1E1A
	s_cselect_b32 s27, s27, s31                                // 000000004314: 851B1F1B
	s_lshr_b32 s60, s46, 1                                     // 000000004318: 8F3C812E
	s_lshl_b32 s60, s60, 8                                     // 00000000431C: 8E3C883C
	s_add_u32 s80, 0xc600, s60                                 // 000000004320: 80503CFF 0000C600
	s_add_u32 s81, 0x200, s80                                  // 000000004328: 805150FF 00000200
	s_mov_b32 s75, 0                                           // 000000004330: BECB0080
	s_mov_b32 s76, 2                                           // 000000004334: BECC0082
	s_lshl_b32 s60, s2, 1                                      // 000000004338: 8E3C8102
	s_add_u32 s60, 1, s60                                      // 00000000433C: 803C3C81
	s_cmp_ge_i32 s60, s77                                      // 000000004340: BF034D3C
	s_cselect_b32 s76, 1, s76                                  // 000000004344: 854C4C81
	v_lshrrev_b32_e32 v28, 2, v0                               // 000000004348: 20380082
	v_and_b32_e32 v29, 3, v28                                  // 00000000434C: 263A3883
	v_lshrrev_b32_e32 v30, 3, v28                              // 000000004350: 203C3883
	v_lshlrev_b32_e32 v30, 2, v30                              // 000000004354: 243C3C82
	v_add_u32_e32 v28, v30, v29                                // 000000004358: 68383B1E
	s_lshr_b32 s60, s46, 1                                     // 00000000435C: 8F3C812E
	s_sub_i32 s60, 1, s60                                      // 000000004360: 81BC3C81
	v_mul_i32_i24_e64 v29, s60, 8                              // 000000004364: D106001D 0001103C
	v_mov_b32_e32 v30, s98                                     // 00000000436C: 7E3C0262
	v_sub_u32_e64 v30, v30, 64                                 // 000000004370: D135001E 0001811E
	v_lshrrev_b32_e32 v30, 3, v30                              // 000000004378: 203C3C83
	v_add_u32_e32 v29, v30, v29                                // 00000000437C: 683A3B1E
	v_cmp_lt_u32_e64 s[90:91], v28, v29                        // 000000004380: D0C9005A 00023B1C

0000000000004388 <label_0162>:
	s_mul_i32 s95, 0xc0, s2                                    // 000000004388: 925F02FF 000000C0
	s_sub_i32 s60, s50, s49                                    // 000000004390: 81BC3132
	s_sub_i32 s71, s95, s60                                    // 000000004394: 81C73C5F
	s_cmp_ge_i32 s71, 0                                        // 000000004398: BF038047
	s_cselect_b32 s59, s71, 0                                  // 00000000439C: 853B8047
	s_add_i32 s60, s71, 0xc0                                   // 0000000043A0: 813CFF47 000000C0
	s_cmp_le_i32 s60, 0                                        // 0000000043A8: BF05803C
	s_cbranch_scc0 label_016E                                  // 0000000043AC: BF840002
	s_mov_b32 s94, 0                                           // 0000000043B0: BEDE0080
	s_branch label_017A                                        // 0000000043B4: BF82000C

00000000000043b8 <label_016E>:
	s_mov_b32 s94, 1                                           // 0000000043B8: BEDE0081
	s_sub_i32 s60, s59, s71                                    // 0000000043BC: 81BC473B
	v_lshrrev_b32_e32 v28, 4, v0                               // 0000000043C0: 20380084
	v_mul_i32_i24_e32 v28, 4, v28                              // 0000000043C4: 0C383884
	v_add_i32 v28, v28, s60                                    // 0000000043C8: D29C001C 0000791C
	v_and_b32_e32 v29, 15, v0                                  // 0000000043D0: 263A008F
	v_mul_i32_i24_e64 v30, s46, 16                             // 0000000043D4: D106001E 0001202E
	v_add_u32_e32 v29, v29, v30                                // 0000000043DC: 683A3D1D
	v_sub_i32 v25, v29, v28                                    // 0000000043E0: D29D0019 0002391D

00000000000043e8 <label_017A>:
	s_mov_b32 m0, s80                                          // 0000000043E8: BEFC0050
	s_mov_b32 s66, 0                                           // 0000000043EC: BEC20080
	v_mov_b32_e32 v151, 0xff800000                             // 0000000043F0: 7F2E02FF FF800000
	s_mov_b32 s74, 0                                           // 0000000043F8: BECA0080
	s_mul_i32 s68, 4, s5                                       // 0000000043FC: 92440584
	s_mul_i32 s99, 4, s51                                      // 000000004400: 92633384
	s_mov_b32 s69, 16                                          // 000000004404: BEC50090
	s_mul_i32 s54, s6, s95                                     // 000000004408: 92365F06
	s_sub_i32 s61, s50, s95                                    // 00000000440C: 81BD5F32
	s_mul_i32 s62, s6, s61                                     // 000000004410: 923E3D06
	s_lshr_b32 s62, s62, 2                                     // 000000004414: 8F3E823E
	s_mov_b32 s14, s62                                         // 000000004418: BE8E003E
	s_add_u32 s12, s54, s84                                    // 00000000441C: 800C5436
	s_addc_u32 s13, 0, s85                                     // 000000004420: 820D5580
	s_mul_i32 s54, s7, s95                                     // 000000004424: 92365F07
	s_mul_i32 s62, s7, s61                                     // 000000004428: 923E3D07
	s_lshr_b32 s62, s62, 2                                     // 00000000442C: 8F3E823E
	s_mov_b32 s18, s62                                         // 000000004430: BE92003E
	s_add_u32 s16, s54, s86                                    // 000000004434: 80105636
	s_addc_u32 s17, 0, s87                                     // 000000004438: 82115780
	s_mov_b32 s71, s6                                          // 00000000443C: BEC70006
	v_lshrrev_b32_e32 v28, 4, v0                               // 000000004440: 20380084
	v_and_b32_e32 v29, 1, v28                                  // 000000004444: 263A3881
	v_lshlrev_b32_e32 v29, 1, v29                              // 000000004448: 243A3A81
	v_mul_i32_i24_e32 v29, s71, v29                            // 00000000444C: 0C3A3A47
	v_and_b32_e32 v30, 2, v28                                  // 000000004450: 263C3882
	v_lshlrev_b32_e32 v30, 5, v30                              // 000000004454: 243C3C85
	v_add_u32_e32 v29, v30, v29                                // 000000004458: 683A3B1E
	v_and_b32_e32 v28, 15, v0                                  // 00000000445C: 2638008F
	v_lshlrev_b32_e32 v28, 2, v28                              // 000000004460: 24383882
	v_add_u32_e32 v1, v28, v29                                 // 000000004464: 68023B1C
	s_and_b32 s60, 1, s46                                      // 000000004468: 863C2E81
	s_mul_i32 s60, s60, s71                                    // 00000000446C: 923C473C
	s_mul_i32 s60, s60, 8                                      // 000000004470: 923C883C
	s_lshr_b32 s61, s46, 1                                     // 000000004474: 8F3D812E
	s_mul_i32 s61, s61, 0x80                                   // 000000004478: 923DFF3D 00000080
	s_add_u32 s60, s60, s61                                    // 000000004480: 803C3D3C
	v_add_u32_e32 v1, s60, v1                                  // 000000004484: 6802023C
	v_add_u32_e32 v2, s71, v1                                  // 000000004488: 68040247
	s_mul_i32 s60, 4, s71                                      // 00000000448C: 923C4784
	v_add_u32_e32 v3, s60, v1                                  // 000000004490: 6806023C
	v_add_u32_e32 v4, s60, v2                                  // 000000004494: 6808043C
	s_mov_b32 s71, s7                                          // 000000004498: BEC70007
	v_lshrrev_b32_e32 v28, 4, v0                               // 00000000449C: 20380084
	v_and_b32_e32 v29, 1, v28                                  // 0000000044A0: 263A3881
	v_lshlrev_b32_e32 v29, 1, v29                              // 0000000044A4: 243A3A81
	v_mul_i32_i24_e32 v29, s71, v29                            // 0000000044A8: 0C3A3A47
	v_and_b32_e32 v30, 2, v28                                  // 0000000044AC: 263C3882
	v_lshlrev_b32_e32 v30, 5, v30                              // 0000000044B0: 243C3C85
	v_add_u32_e32 v29, v30, v29                                // 0000000044B4: 683A3B1E
	v_and_b32_e32 v28, 15, v0                                  // 0000000044B8: 2638008F
	v_lshlrev_b32_e32 v28, 2, v28                              // 0000000044BC: 24383882
	v_add_u32_e32 v252, v28, v29                               // 0000000044C0: 69F83B1C
	s_and_b32 s60, 1, s46                                      // 0000000044C4: 863C2E81
	s_mul_i32 s60, s60, s71                                    // 0000000044C8: 923C473C
	s_mul_i32 s60, s60, 8                                      // 0000000044CC: 923C883C
	s_lshr_b32 s61, s46, 1                                     // 0000000044D0: 8F3D812E
	s_mul_i32 s61, s61, 0x80                                   // 0000000044D4: 923DFF3D 00000080
	s_add_u32 s60, s60, s61                                    // 0000000044DC: 803C3D3C
	v_add_u32_e32 v252, s60, v252                              // 0000000044E0: 69F9F83C
	v_add_u32_e32 v253, s71, v252                              // 0000000044E4: 69FBF847
	s_mul_i32 s60, 4, s71                                      // 0000000044E8: 923C4784
	v_add_u32_e32 v254, s60, v252                              // 0000000044EC: 69FDF83C
	v_add_u32_e32 v255, s60, v253                              // 0000000044F0: 69FFFA3C
	v_lshrrev_b32_e32 v1, 2, v1                                // 0000000044F4: 20020282
	v_lshrrev_b32_e32 v2, 2, v2                                // 0000000044F8: 20040482
	v_lshrrev_b32_e32 v3, 2, v3                                // 0000000044FC: 20060682
	v_lshrrev_b32_e32 v4, 2, v4                                // 000000004500: 20080882
	v_lshrrev_b32_e32 v252, 2, v252                            // 000000004504: 21F9F882
	v_lshrrev_b32_e32 v253, 2, v253                            // 000000004508: 21FBFA82
	v_lshrrev_b32_e32 v254, 2, v254                            // 00000000450C: 21FDFC82
	v_lshrrev_b32_e32 v255, 2, v255                            // 000000004510: 21FFFE82
	s_mov_b32 s70, s52                                         // 000000004514: BEC60034
	v_lshrrev_b32_e32 v28, 4, v0                               // 000000004518: 20380084
	v_mul_i32_i24_e32 v5, s70, v28                             // 00000000451C: 0C0A3846
	v_lshrrev_b32_e32 v5, 2, v5                                // 000000004520: 200A0A82
	v_and_b32_e32 v28, 15, v0                                  // 000000004524: 2638008F
	v_lshlrev_b32_e32 v29, 2, v28                              // 000000004528: 243A3882
	v_add_u32_e32 v5, v29, v5                                  // 00000000452C: 680A0B1D
	s_mul_i32 s60, 16, s70                                     // 000000004530: 923C4690
	s_mul_i32 s60, s46, s60                                    // 000000004534: 923C3C2E
	v_lshlrev_b32_e32 v5, 2, v5                                // 000000004538: 240A0A82
	v_add_u32_e32 v5, s60, v5                                  // 00000000453C: 680A0A3C
	s_mul_i32 s60, s52, s95                                    // 000000004540: 923C5F34
	v_add_u32_e32 v5, s60, v5                                  // 000000004544: 680A0A3C
	v_lshrrev_b32_e32 v5, 2, v5                                // 000000004548: 200A0A82
	s_mov_b32 s70, s53                                         // 00000000454C: BEC60035
	v_lshrrev_b32_e32 v28, 4, v0                               // 000000004550: 20380084
	v_mul_i32_i24_e32 v6, s70, v28                             // 000000004554: 0C0C3846
	v_lshrrev_b32_e32 v6, 2, v6                                // 000000004558: 200C0C82
	v_and_b32_e32 v28, 15, v0                                  // 00000000455C: 2638008F
	v_lshlrev_b32_e32 v29, 2, v28                              // 000000004560: 243A3882
	v_add_u32_e32 v6, v29, v6                                  // 000000004564: 680C0D1D
	s_mul_i32 s60, 16, s70                                     // 000000004568: 923C4690
	s_mul_i32 s60, s46, s60                                    // 00000000456C: 923C3C2E
	v_lshlrev_b32_e32 v6, 2, v6                                // 000000004570: 240C0C82
	v_add_u32_e32 v6, s60, v6                                  // 000000004574: 680C0C3C
	s_mul_i32 s60, s53, s95                                    // 000000004578: 923C5F35
	v_add_u32_e32 v6, s60, v6                                  // 00000000457C: 680C0C3C
	v_lshrrev_b32_e32 v6, 2, v6                                // 000000004580: 200C0C82
	s_cmp_ge_i32 s59, s49                                      // 000000004584: BF03313B
	s_cselect_b32 s59, s49, s59                                // 000000004588: 853B3B31
	s_add_u32 s73, 16, s59                                     // 00000000458C: 80493B90
	s_mul_i32 s55, s5, s59                                     // 000000004590: 92373B05
	s_sub_i32 s61, s49, s59                                    // 000000004594: 81BD3B31
	s_mul_i32 s62, s5, s61                                     // 000000004598: 923E3D05
	s_lshr_b32 s62, s62, 2                                     // 00000000459C: 8F3E823E
	s_mov_b32 s10, s62                                         // 0000000045A0: BE8A003E
	s_add_u32 s8, s55, s82                                     // 0000000045A4: 80085237
	s_addc_u32 s9, 0, s83                                      // 0000000045A8: 82095380
	s_mul_i32 s56, s51, s59                                    // 0000000045AC: 92383B33
	s_mul_i32 s62, s51, s61                                    // 0000000045B0: 923E3D33
	s_lshr_b32 s62, s62, 2                                     // 0000000045B4: 8F3E823E
	s_mov_b32 s22, s62                                         // 0000000045B8: BE96003E
	s_add_u32 s20, s56, s88                                    // 0000000045BC: 80145838
	s_addc_u32 s21, 0, s89                                     // 0000000045C0: 82155980
	s_mul_i32 s65, s59, 4                                      // 0000000045C4: 9241843B
	v_and_b32_e32 v9, 15, v0                                   // 0000000045C8: 2612008F
	v_lshlrev_b32_e32 v9, 2, v9                                // 0000000045CC: 24121282
	v_add_u32_e32 v9, s65, v9                                  // 0000000045D0: 68121241
	v_lshrrev_b32_e32 v9, 2, v9                                // 0000000045D4: 20121282
	v_lshrrev_b32_e32 v28, 5, v0                               // 0000000045D8: 20380085
	v_mul_i32_i24_e64 v29, s98, 2                              // 0000000045DC: D106001D 00010462
	v_mul_i32_i24_e32 v7, v29, v28                             // 0000000045E4: 0C0E391D
	v_and_b32_e32 v28, 31, v0                                  // 0000000045E8: 2638009F
	v_add_u32_e32 v7, v28, v7                                  // 0000000045EC: 680E0F1C
	s_mul_i32 s60, 4, s98                                      // 0000000045F0: 923C6284
	s_mul_i32 s60, s46, s60                                    // 0000000045F4: 923C3C2E
	v_add_u32_e32 v7, s60, v7                                  // 0000000045F8: 680E0E3C
	v_lshlrev_b32_e32 v7, 2, v7                                // 0000000045FC: 240E0E82
	v_mul_i32_i24_e32 v29, 2, v29                              // 000000004600: 0C3A3A82
	v_add_u32_e32 v8, v29, v7                                  // 000000004604: 68100F1D
	s_mul_i32 s60, s98, s65                                    // 000000004608: 923C4162
	v_add_u32_e32 v7, s60, v7                                  // 00000000460C: 680E0E3C
	v_add_u32_e32 v8, s60, v8                                  // 000000004610: 6810103C
	s_mul_i32 s60, 3, s2                                       // 000000004614: 923C0283
	s_add_u32 s61, s50, 63                                     // 000000004618: 803DBF32
	s_lshr_b32 s61, s61, 6                                     // 00000000461C: 8F3D863D
	s_sub_i32 s72, s61, s60                                    // 000000004620: 81C83C3D
	s_cmp_lt_i32 s72, 3                                        // 000000004624: BF048348
	s_cselect_b32 s72, s72, 3                                  // 000000004628: 85488348
	s_mul_i32 s60, 0xc0, s2                                    // 00000000462C: 923C02FF 000000C0
	s_sub_i32 s100, s50, s60                                   // 000000004634: 81E43C32
	v_and_b32_e32 v28, 31, v0                                  // 000000004638: 2638009F
	v_lshrrev_b32_e32 v28, 1, v28                              // 00000000463C: 20383881
	v_and_b32_e32 v29, 1, v28                                  // 000000004640: 263A3881
	v_lshlrev_b32_e32 v29, 4, v29                              // 000000004644: 243A3A84
	v_and_b32_e32 v30, 2, v28                                  // 000000004648: 263C3882
	v_lshlrev_b32_e32 v30, 2, v30                              // 00000000464C: 243C3C82
	v_add_u32_e32 v29, v30, v29                                // 000000004650: 683A3B1E
	v_and_b32_e32 v30, 12, v28                                 // 000000004654: 263C388C
	v_lshrrev_b32_e32 v30, 1, v30                              // 000000004658: 203C3C81
	v_add_u32_e32 v29, v30, v29                                // 00000000465C: 683A3B1E
	v_lshrrev_b32_e32 v28, 5, v0                               // 000000004660: 20380085
	v_mul_i32_i24_e32 v30, 0x80, v28                           // 000000004664: 0C3C38FF 00000080
	v_add_u32_e32 v29, v30, v29                                // 00000000466C: 683A3B1E
	v_and_b32_e32 v30, 1, v0                                   // 000000004670: 263C0081
	v_add_u32_e32 v11, v30, v29                                // 000000004674: 68163B1E
	s_and_b32 s60, 1, s46                                      // 000000004678: 863C2E81
	s_mul_i32 s60, s60, 64                                     // 00000000467C: 923CC03C
	s_lshr_b32 s61, s46, 1                                     // 000000004680: 8F3D812E
	s_mul_i32 s61, s61, 0x220                                  // 000000004684: 923DFF3D 00000220
	s_add_u32 s60, s60, s61                                    // 00000000468C: 803C3D3C
	v_add_u32_e32 v11, s60, v11                                // 000000004690: 6816163C
	v_lshlrev_b32_e32 v11, 2, v11                              // 000000004694: 24161682
	v_lshrrev_b32_e32 v28, 4, v0                               // 000000004698: 20380084
	v_and_b32_e32 v29, 1, v28                                  // 00000000469C: 263A3881
	v_lshlrev_b32_e32 v29, 4, v29                              // 0000000046A0: 243A3A84
	v_and_b32_e32 v30, 2, v28                                  // 0000000046A4: 263C3882
	v_mul_i32_i24_e32 v30, 4, v30                              // 0000000046A8: 0C3C3C84
	v_add_u32_e32 v29, v30, v29                                // 0000000046AC: 683A3B1E
	v_and_b32_e32 v28, 15, v0                                  // 0000000046B0: 2638008F
	v_lshrrev_b32_e32 v30, 2, v28                              // 0000000046B4: 203C3882
	v_lshlrev_b32_e32 v30, 5, v30                              // 0000000046B8: 243C3C85
	v_add_u32_e32 v29, v30, v29                                // 0000000046BC: 683A3B1E
	v_and_b32_e32 v28, 3, v0                                   // 0000000046C0: 26380083
	v_and_b32_e32 v30, 1, v28                                  // 0000000046C4: 263C3881
	v_mul_i32_i24_e32 v30, 0x108, v30                          // 0000000046C8: 0C3C3CFF 00000108
	v_add_u32_e32 v29, v30, v29                                // 0000000046D0: 683A3B1E
	v_and_b32_e32 v30, 2, v28                                  // 0000000046D4: 263C3882
	v_lshlrev_b32_e32 v30, 1, v30                              // 0000000046D8: 243C3C81
	v_add_u32_e32 v10, v30, v29                                // 0000000046DC: 68143B1E
	v_lshlrev_b32_e32 v10, 2, v10                              // 0000000046E0: 24141482
	s_mul_i32 s60, s46, 0x1100                                 // 0000000046E4: 923CFF2E 00001100
	v_add_u32_e32 v22, s60, v10                                // 0000000046EC: 682C143C
	v_lshrrev_b32_e32 v28, 5, v0                               // 0000000046F0: 20380085
	v_mul_i32_i24_e32 v13, 0x80, v28                           // 0000000046F4: 0C1A38FF 00000080
	v_and_b32_e32 v28, 31, v0                                  // 0000000046FC: 2638009F
	v_and_b32_e32 v29, 7, v28                                  // 000000004700: 263A3887
	v_and_b32_e32 v30, 1, v29                                  // 000000004704: 263C3A81
	v_lshlrev_b32_e32 v30, 2, v30                              // 000000004708: 243C3C82
	v_add_u32_e32 v13, v30, v13                                // 00000000470C: 681A1B1E
	v_and_b32_e32 v30, 2, v29                                  // 000000004710: 263C3A82
	v_lshlrev_b32_e32 v30, 3, v30                              // 000000004714: 243C3C83
	v_add_u32_e32 v13, v30, v13                                // 000000004718: 681A1B1E
	v_and_b32_e32 v30, 4, v29                                  // 00000000471C: 263C3A84
	v_lshlrev_b32_e32 v30, 1, v30                              // 000000004720: 243C3C81
	v_add_u32_e32 v13, v30, v13                                // 000000004724: 681A1B1E
	v_lshrrev_b32_e32 v29, 3, v28                              // 000000004728: 203A3883
	v_and_b32_e32 v30, 1, v29                                  // 00000000472C: 263C3A81
	v_lshlrev_b32_e32 v30, 1, v30                              // 000000004730: 243C3C81
	v_add_u32_e32 v13, v30, v13                                // 000000004734: 681A1B1E
	v_and_b32_e32 v30, 2, v29                                  // 000000004738: 263C3A82
	v_lshrrev_b32_e32 v30, 1, v30                              // 00000000473C: 203C3C81
	v_add_u32_e32 v13, v30, v13                                // 000000004740: 681A1B1E
	s_and_b32 s60, 1, s46                                      // 000000004744: 863C2E81
	s_mul_i32 s60, s60, 64                                     // 000000004748: 923CC03C
	s_lshr_b32 s61, s46, 1                                     // 00000000474C: 8F3D812E
	s_mul_i32 s61, s61, 0x220                                  // 000000004750: 923DFF3D 00000220
	s_add_u32 s60, s60, s61                                    // 000000004758: 803C3D3C
	v_add_u32_e32 v13, s60, v13                                // 00000000475C: 681A1A3C
	v_lshlrev_b32_e32 v13, 2, v13                              // 000000004760: 241A1A82
	v_and_b32_e32 v28, 15, v0                                  // 000000004764: 2638008F
	v_and_b32_e32 v30, 1, v28                                  // 000000004768: 263C3881
	v_mul_i32_i24_e32 v12, 0x108, v30                          // 00000000476C: 0C183CFF 00000108
	v_and_b32_e32 v30, 2, v28                                  // 000000004774: 263C3882
	v_lshlrev_b32_e32 v30, 1, v30                              // 000000004778: 243C3C81
	v_add_u32_e32 v12, v30, v12                                // 00000000477C: 6818191E
	v_and_b32_e32 v30, 4, v28                                  // 000000004780: 263C3884
	v_lshlrev_b32_e32 v30, 2, v30                              // 000000004784: 243C3C82
	v_add_u32_e32 v12, v30, v12                                // 000000004788: 6818191E
	v_and_b32_e32 v30, 8, v28                                  // 00000000478C: 263C3888
	v_add_u32_e32 v12, v30, v12                                // 000000004790: 6818191E
	v_lshrrev_b32_e32 v28, 4, v0                               // 000000004794: 20380084
	v_and_b32_e32 v30, 1, v28                                  // 000000004798: 263C3881
	v_lshlrev_b32_e32 v30, 5, v30                              // 00000000479C: 243C3C85
	v_add_u32_e32 v12, v30, v12                                // 0000000047A0: 6818191E
	v_and_b32_e32 v29, 2, v28                                  // 0000000047A4: 263A3882
	v_mul_i32_i24_e32 v30, 32, v29                             // 0000000047A8: 0C3C3AA0
	v_mul_i32_i24_e32 v29, 0x220, v29                          // 0000000047AC: 0C3A3AFF 00000220
	v_add_u32_e32 v23, v29, v12                                // 0000000047B4: 682E191D
	v_add_u32_e32 v12, v30, v12                                // 0000000047B8: 6818191E
	v_lshlrev_b32_e32 v12, 2, v12                              // 0000000047BC: 24181882
	v_lshlrev_b32_e32 v23, 2, v23                              // 0000000047C0: 242E2E82
	s_and_b32 s60, 1, s46                                      // 0000000047C4: 863C2E81
	s_mul_i32 s60, s60, 0x200                                  // 0000000047C8: 923CFF3C 00000200
	s_lshr_b32 s61, s46, 1                                     // 0000000047D0: 8F3D812E
	s_mul_i32 s61, s61, 0x880                                  // 0000000047D4: 923DFF3D 00000880
	s_add_u32 s60, s60, s61                                    // 0000000047DC: 803C3D3C
	v_add_u32_e32 v23, s60, v23                                // 0000000047E0: 682E2E3C
	v_lshrrev_b32_e32 v28, 4, v0                               // 0000000047E4: 20380084
	v_mul_i32_i24_e32 v21, 4, v28                              // 0000000047E8: 0C2A3884
	v_and_b32_e32 v29, 3, v0                                   // 0000000047EC: 263A0083
	v_add_u32_e32 v21, v29, v21                                // 0000000047F0: 682A2B1D
	v_lshlrev_b32_e32 v21, 2, v21                              // 0000000047F4: 242A2A82
	v_lshrrev_b32_e32 v28, 4, v0                               // 0000000047F8: 20380084
	v_and_b32_e32 v29, 1, v28                                  // 0000000047FC: 263A3881
	v_mul_i32_i24_e32 v19, 0x100, v29                          // 000000004800: 0C263AFF 00000100
	v_and_b32_e32 v29, 2, v28                                  // 000000004808: 263A3882
	v_mul_i32_i24_e32 v29, 64, v29                             // 00000000480C: 0C3A3AC0
	v_add_u32_e32 v19, v29, v19                                // 000000004810: 6826271D
	v_and_b32_e32 v28, 15, v0                                  // 000000004814: 2638008F
	v_mul_i32_i24_e32 v29, 2, v28                              // 000000004818: 0C3A3882
	v_add_u32_e32 v19, v29, v19                                // 00000000481C: 6826271D
	s_mul_i32 s60, s46, 32                                     // 000000004820: 923CA02E
	v_add_u32_e32 v19, s60, v19                                // 000000004824: 6826263C
	v_lshlrev_b32_e32 v19, 2, v19                              // 000000004828: 24262682
	v_lshlrev_b32_e32 v20, 1, v0                               // 00000000482C: 24280081
	s_mul_i32 s60, s46, 0x200                                  // 000000004830: 923CFF2E 00000200
	v_add_u32_e32 v20, s60, v20                                // 000000004838: 6828283C
	v_lshlrev_b32_e32 v20, 2, v20                              // 00000000483C: 24282882
	v_lshrrev_b32_e32 v28, 5, v0                               // 000000004840: 20380085
	v_mul_i32_i24_e32 v17, 64, v28                             // 000000004844: 0C2238C0
	v_and_b32_e32 v28, 31, v0                                  // 000000004848: 2638009F
	v_and_b32_e32 v28, 3, v28                                  // 00000000484C: 26383883
	v_and_b32_e32 v29, 1, v28                                  // 000000004850: 263A3881
	v_mul_i32_i24_e32 v29, 4, v29                              // 000000004854: 0C3A3A84
	v_add_u32_e32 v17, v29, v17                                // 000000004858: 6822231D
	v_and_b32_e32 v29, 2, v28                                  // 00000000485C: 263A3882
	v_mul_i32_i24_e32 v29, 0x44, v29                           // 000000004860: 0C3A3AFF 00000044
	v_add_u32_e32 v17, v29, v17                                // 000000004868: 6822231D
	v_and_b32_e32 v28, 31, v0                                  // 00000000486C: 2638009F
	v_lshrrev_b32_e32 v28, 2, v28                              // 000000004870: 20383882
	v_lshrrev_b32_e32 v30, 2, v28                              // 000000004874: 203C3882
	v_mul_i32_i24_e32 v29, 16, v30                             // 000000004878: 0C3A3C90
	v_add_u32_e32 v17, v29, v17                                // 00000000487C: 6822231D
	v_and_b32_e32 v29, 2, v28                                  // 000000004880: 263A3882
	v_lshlrev_b32_e32 v29, 4, v29                              // 000000004884: 243A3A84
	v_add_u32_e32 v17, v29, v17                                // 000000004888: 6822231D
	v_and_b32_e32 v29, 1, v28                                  // 00000000488C: 263A3881
	v_xor_b32_e32 v29, v30, v29                                // 000000004890: 2A3A3B1E
	v_mul_i32_i24_e32 v29, 8, v29                              // 000000004894: 0C3A3A88
	v_add_u32_e32 v17, v29, v17                                // 000000004898: 6822231D
	v_lshlrev_b32_e32 v17, 2, v17                              // 00000000489C: 24222282
	v_lshrrev_b32_e32 v28, 5, v0                               // 0000000048A0: 20380085
	v_mul_i32_i24_e32 v18, 32, v28                             // 0000000048A4: 0C2438A0
	v_and_b32_e32 v28, 31, v0                                  // 0000000048A8: 2638009F
	v_and_b32_e32 v28, 3, v28                                  // 0000000048AC: 26383883
	v_and_b32_e32 v29, 1, v28                                  // 0000000048B0: 263A3881
	v_mul_i32_i24_e32 v29, 4, v29                              // 0000000048B4: 0C3A3A84
	v_add_u32_e32 v18, v29, v18                                // 0000000048B8: 6824251D
	v_and_b32_e32 v29, 2, v28                                  // 0000000048BC: 263A3882
	v_lshrrev_b32_e32 v29, 1, v29                              // 0000000048C0: 203A3A81
	v_add_u32_e32 v18, v29, v18                                // 0000000048C4: 6824251D
	v_and_b32_e32 v28, 31, v0                                  // 0000000048C8: 2638009F
	v_lshrrev_b32_e32 v28, 2, v28                              // 0000000048CC: 20383882
	v_and_b32_e32 v30, 1, v28                                  // 0000000048D0: 263C3881
	v_mul_i32_i24_e32 v29, 16, v30                             // 0000000048D4: 0C3A3C90
	v_add_u32_e32 v18, v29, v18                                // 0000000048D8: 6824251D
	v_and_b32_e32 v29, 2, v28                                  // 0000000048DC: 263A3882
	v_add_u32_e32 v18, v29, v18                                // 0000000048E0: 6824251D
	v_lshrrev_b32_e32 v29, 2, v28                              // 0000000048E4: 203A3882
	v_xor_b32_e32 v29, v30, v29                                // 0000000048E8: 2A3A3B1E
	v_mul_i32_i24_e32 v29, 8, v29                              // 0000000048EC: 0C3A3A88
	v_add_u32_e32 v18, v29, v18                                // 0000000048F0: 6824251D
	s_and_b32 s60, 1, s46                                      // 0000000048F4: 863C2E81
	s_mul_i32 s60, s60, 64                                     // 0000000048F8: 923CC03C
	s_lshr_b32 s61, s46, 1                                     // 0000000048FC: 8F3D812E
	s_mul_i32 s61, s61, 0x120                                  // 000000004900: 923DFF3D 00000120
	s_add_u32 s60, s60, s61                                    // 000000004908: 803C3D3C
	v_add_u32_e32 v18, s60, v18                                // 00000000490C: 6824243C
	v_lshlrev_b32_e32 v18, 2, v18                              // 000000004910: 24242482
	v_mov_b32_e32 v152, 0                                      // 000000004914: 7F300280
	s_mov_b64 exec, s[90:91]                                   // 000000004918: BEFE015A
	buffer_load_dword v152, v1, s[12:15], 0 idxen              // 00000000491C: E0502000 80039801
	s_mov_b32 exec_lo, -1                                      // 000000004924: BEFE00C1
	s_mov_b32 exec_hi, -1                                      // 000000004928: BEFF00C1
	v_mov_b32_e32 v153, 0                                      // 00000000492C: 7F320280
	s_mov_b64 exec, s[90:91]                                   // 000000004930: BEFE015A
	buffer_load_dword v153, v2, s[12:15], 0 idxen              // 000000004934: E0502000 80039902
	s_mov_b32 exec_lo, -1                                      // 00000000493C: BEFE00C1
	s_mov_b32 exec_hi, -1                                      // 000000004940: BEFF00C1
	v_mov_b32_e32 v154, 0                                      // 000000004944: 7F340280
	s_mov_b64 exec, s[90:91]                                   // 000000004948: BEFE015A
	buffer_load_dword v154, v3, s[12:15], 0 idxen              // 00000000494C: E0502000 80039A03
	s_mov_b32 exec_lo, -1                                      // 000000004954: BEFE00C1
	s_mov_b32 exec_hi, -1                                      // 000000004958: BEFF00C1
	v_mov_b32_e32 v155, 0                                      // 00000000495C: 7F360280
	s_mov_b64 exec, s[90:91]                                   // 000000004960: BEFE015A
	buffer_load_dword v155, v4, s[12:15], 0 idxen              // 000000004964: E0502000 80039B04
	s_mov_b32 exec_lo, -1                                      // 00000000496C: BEFE00C1
	s_mov_b32 exec_hi, -1                                      // 000000004970: BEFF00C1
	s_mul_i32 s60, 4, s6                                       // 000000004974: 923C0684
	s_cmp_lt_i32 0, s72                                        // 000000004978: BF044880
	s_cselect_b32 s60, s60, 0                                  // 00000000497C: 853C803C
	v_add_u32_e32 v1, s60, v1                                  // 000000004980: 6802023C
	v_add_u32_e32 v2, s60, v2                                  // 000000004984: 6804043C
	v_add_u32_e32 v3, s60, v3                                  // 000000004988: 6806063C
	v_add_u32_e32 v4, s60, v4                                  // 00000000498C: 6808083C
	v_mov_b32_e32 v156, 0                                      // 000000004990: 7F380280
	s_mov_b64 exec, s[90:91]                                   // 000000004994: BEFE015A
	buffer_load_dword v156, v1, s[12:15], 0 idxen              // 000000004998: E0502000 80039C01
	s_mov_b32 exec_lo, -1                                      // 0000000049A0: BEFE00C1
	s_mov_b32 exec_hi, -1                                      // 0000000049A4: BEFF00C1
	v_mov_b32_e32 v157, 0                                      // 0000000049A8: 7F3A0280
	s_mov_b64 exec, s[90:91]                                   // 0000000049AC: BEFE015A
	buffer_load_dword v157, v2, s[12:15], 0 idxen              // 0000000049B0: E0502000 80039D02
	s_mov_b32 exec_lo, -1                                      // 0000000049B8: BEFE00C1
	s_mov_b32 exec_hi, -1                                      // 0000000049BC: BEFF00C1
	v_mov_b32_e32 v158, 0                                      // 0000000049C0: 7F3C0280
	s_mov_b64 exec, s[90:91]                                   // 0000000049C4: BEFE015A
	buffer_load_dword v158, v3, s[12:15], 0 idxen              // 0000000049C8: E0502000 80039E03
	s_mov_b32 exec_lo, -1                                      // 0000000049D0: BEFE00C1
	s_mov_b32 exec_hi, -1                                      // 0000000049D4: BEFF00C1
	v_mov_b32_e32 v159, 0                                      // 0000000049D8: 7F3E0280
	s_mov_b64 exec, s[90:91]                                   // 0000000049DC: BEFE015A
	buffer_load_dword v159, v4, s[12:15], 0 idxen              // 0000000049E0: E0502000 80039F04
	s_mov_b32 exec_lo, -1                                      // 0000000049E8: BEFE00C1
	s_mov_b32 exec_hi, -1                                      // 0000000049EC: BEFF00C1
	s_mul_i32 s60, 4, s6                                       // 0000000049F0: 923C0684
	s_cmp_lt_i32 0, s72                                        // 0000000049F4: BF044880
	s_cselect_b32 s60, s60, 0                                  // 0000000049F8: 853C803C
	v_add_u32_e32 v1, s60, v1                                  // 0000000049FC: 6802023C
	v_add_u32_e32 v2, s60, v2                                  // 000000004A00: 6804043C
	v_add_u32_e32 v3, s60, v3                                  // 000000004A04: 6806063C
	v_add_u32_e32 v4, s60, v4                                  // 000000004A08: 6808083C
	v_mov_b32_e32 v160, 0                                      // 000000004A0C: 7F400280
	s_mov_b64 exec, s[90:91]                                   // 000000004A10: BEFE015A
	buffer_load_dword v160, v1, s[12:15], 0 idxen              // 000000004A14: E0502000 8003A001
	s_mov_b32 exec_lo, -1                                      // 000000004A1C: BEFE00C1
	s_mov_b32 exec_hi, -1                                      // 000000004A20: BEFF00C1
	v_mov_b32_e32 v161, 0                                      // 000000004A24: 7F420280
	s_mov_b64 exec, s[90:91]                                   // 000000004A28: BEFE015A
	buffer_load_dword v161, v2, s[12:15], 0 idxen              // 000000004A2C: E0502000 8003A102
	s_mov_b32 exec_lo, -1                                      // 000000004A34: BEFE00C1
	s_mov_b32 exec_hi, -1                                      // 000000004A38: BEFF00C1
	v_mov_b32_e32 v162, 0                                      // 000000004A3C: 7F440280
	s_mov_b64 exec, s[90:91]                                   // 000000004A40: BEFE015A
	buffer_load_dword v162, v3, s[12:15], 0 idxen              // 000000004A44: E0502000 8003A203
	s_mov_b32 exec_lo, -1                                      // 000000004A4C: BEFE00C1
	s_mov_b32 exec_hi, -1                                      // 000000004A50: BEFF00C1
	v_mov_b32_e32 v163, 0                                      // 000000004A54: 7F460280
	s_mov_b64 exec, s[90:91]                                   // 000000004A58: BEFE015A
	buffer_load_dword v163, v4, s[12:15], 0 idxen              // 000000004A5C: E0502000 8003A304
	s_mov_b32 exec_lo, -1                                      // 000000004A64: BEFE00C1
	s_mov_b32 exec_hi, -1                                      // 000000004A68: BEFF00C1
	s_mul_i32 s60, 4, s6                                       // 000000004A6C: 923C0684
	s_cmp_lt_i32 0, s72                                        // 000000004A70: BF044880
	s_cselect_b32 s60, s60, 0                                  // 000000004A74: 853C803C
	v_add_u32_e32 v1, s60, v1                                  // 000000004A78: 6802023C
	v_add_u32_e32 v2, s60, v2                                  // 000000004A7C: 6804043C
	v_add_u32_e32 v3, s60, v3                                  // 000000004A80: 6806063C
	v_add_u32_e32 v4, s60, v4                                  // 000000004A84: 6808083C
	v_mov_b32_e32 v164, 0                                      // 000000004A88: 7F480280
	s_mov_b64 exec, s[90:91]                                   // 000000004A8C: BEFE015A
	buffer_load_dword v164, v1, s[12:15], 0 idxen              // 000000004A90: E0502000 8003A401
	s_mov_b32 exec_lo, -1                                      // 000000004A98: BEFE00C1
	s_mov_b32 exec_hi, -1                                      // 000000004A9C: BEFF00C1
	v_mov_b32_e32 v165, 0                                      // 000000004AA0: 7F4A0280
	s_mov_b64 exec, s[90:91]                                   // 000000004AA4: BEFE015A
	buffer_load_dword v165, v2, s[12:15], 0 idxen              // 000000004AA8: E0502000 8003A502
	s_mov_b32 exec_lo, -1                                      // 000000004AB0: BEFE00C1
	s_mov_b32 exec_hi, -1                                      // 000000004AB4: BEFF00C1
	v_mov_b32_e32 v166, 0                                      // 000000004AB8: 7F4C0280
	s_mov_b64 exec, s[90:91]                                   // 000000004ABC: BEFE015A
	buffer_load_dword v166, v3, s[12:15], 0 idxen              // 000000004AC0: E0502000 8003A603
	s_mov_b32 exec_lo, -1                                      // 000000004AC8: BEFE00C1
	s_mov_b32 exec_hi, -1                                      // 000000004ACC: BEFF00C1
	v_mov_b32_e32 v167, 0                                      // 000000004AD0: 7F4E0280
	s_mov_b64 exec, s[90:91]                                   // 000000004AD4: BEFE015A
	buffer_load_dword v167, v4, s[12:15], 0 idxen              // 000000004AD8: E0502000 8003A704
	s_mov_b32 exec_lo, -1                                      // 000000004AE0: BEFE00C1
	s_mov_b32 exec_hi, -1                                      // 000000004AE4: BEFF00C1
	s_mul_i32 s60, 4, s6                                       // 000000004AE8: 923C0684
	s_cmp_lt_i32 1, s72                                        // 000000004AEC: BF044881
	s_cselect_b32 s60, s60, 0                                  // 000000004AF0: 853C803C
	v_add_u32_e32 v1, s60, v1                                  // 000000004AF4: 6802023C
	v_add_u32_e32 v2, s60, v2                                  // 000000004AF8: 6804043C
	v_add_u32_e32 v3, s60, v3                                  // 000000004AFC: 6806063C
	v_add_u32_e32 v4, s60, v4                                  // 000000004B00: 6808083C
	v_mov_b32_e32 v168, 0                                      // 000000004B04: 7F500280
	s_mov_b64 exec, s[90:91]                                   // 000000004B08: BEFE015A
	buffer_load_dword v168, v1, s[12:15], 0 idxen              // 000000004B0C: E0502000 8003A801
	s_mov_b32 exec_lo, -1                                      // 000000004B14: BEFE00C1
	s_mov_b32 exec_hi, -1                                      // 000000004B18: BEFF00C1
	v_mov_b32_e32 v169, 0                                      // 000000004B1C: 7F520280
	s_mov_b64 exec, s[90:91]                                   // 000000004B20: BEFE015A
	buffer_load_dword v169, v2, s[12:15], 0 idxen              // 000000004B24: E0502000 8003A902
	s_mov_b32 exec_lo, -1                                      // 000000004B2C: BEFE00C1
	s_mov_b32 exec_hi, -1                                      // 000000004B30: BEFF00C1
	v_mov_b32_e32 v170, 0                                      // 000000004B34: 7F540280
	s_mov_b64 exec, s[90:91]                                   // 000000004B38: BEFE015A
	buffer_load_dword v170, v3, s[12:15], 0 idxen              // 000000004B3C: E0502000 8003AA03
	s_mov_b32 exec_lo, -1                                      // 000000004B44: BEFE00C1
	s_mov_b32 exec_hi, -1                                      // 000000004B48: BEFF00C1
	v_mov_b32_e32 v171, 0                                      // 000000004B4C: 7F560280
	s_mov_b64 exec, s[90:91]                                   // 000000004B50: BEFE015A
	buffer_load_dword v171, v4, s[12:15], 0 idxen              // 000000004B54: E0502000 8003AB04
	s_mov_b32 exec_lo, -1                                      // 000000004B5C: BEFE00C1
	s_mov_b32 exec_hi, -1                                      // 000000004B60: BEFF00C1
	s_mul_i32 s60, 4, s6                                       // 000000004B64: 923C0684
	s_cmp_lt_i32 1, s72                                        // 000000004B68: BF044881
	s_cselect_b32 s60, s60, 0                                  // 000000004B6C: 853C803C
	v_add_u32_e32 v1, s60, v1                                  // 000000004B70: 6802023C
	v_add_u32_e32 v2, s60, v2                                  // 000000004B74: 6804043C
	v_add_u32_e32 v3, s60, v3                                  // 000000004B78: 6806063C
	v_add_u32_e32 v4, s60, v4                                  // 000000004B7C: 6808083C
	v_mov_b32_e32 v172, 0                                      // 000000004B80: 7F580280
	s_mov_b64 exec, s[90:91]                                   // 000000004B84: BEFE015A
	buffer_load_dword v172, v1, s[12:15], 0 idxen              // 000000004B88: E0502000 8003AC01
	s_mov_b32 exec_lo, -1                                      // 000000004B90: BEFE00C1
	s_mov_b32 exec_hi, -1                                      // 000000004B94: BEFF00C1
	v_mov_b32_e32 v173, 0                                      // 000000004B98: 7F5A0280
	s_mov_b64 exec, s[90:91]                                   // 000000004B9C: BEFE015A
	buffer_load_dword v173, v2, s[12:15], 0 idxen              // 000000004BA0: E0502000 8003AD02
	s_mov_b32 exec_lo, -1                                      // 000000004BA8: BEFE00C1
	s_mov_b32 exec_hi, -1                                      // 000000004BAC: BEFF00C1
	v_mov_b32_e32 v174, 0                                      // 000000004BB0: 7F5C0280
	s_mov_b64 exec, s[90:91]                                   // 000000004BB4: BEFE015A
	buffer_load_dword v174, v3, s[12:15], 0 idxen              // 000000004BB8: E0502000 8003AE03
	s_mov_b32 exec_lo, -1                                      // 000000004BC0: BEFE00C1
	s_mov_b32 exec_hi, -1                                      // 000000004BC4: BEFF00C1
	v_mov_b32_e32 v175, 0                                      // 000000004BC8: 7F5E0280
	s_mov_b64 exec, s[90:91]                                   // 000000004BCC: BEFE015A
	buffer_load_dword v175, v4, s[12:15], 0 idxen              // 000000004BD0: E0502000 8003AF04
	s_mov_b32 exec_lo, -1                                      // 000000004BD8: BEFE00C1
	s_mov_b32 exec_hi, -1                                      // 000000004BDC: BEFF00C1
	s_mul_i32 s60, 4, s6                                       // 000000004BE0: 923C0684
	s_cmp_lt_i32 1, s72                                        // 000000004BE4: BF044881
	s_cselect_b32 s60, s60, 0                                  // 000000004BE8: 853C803C
	v_add_u32_e32 v1, s60, v1                                  // 000000004BEC: 6802023C
	v_add_u32_e32 v2, s60, v2                                  // 000000004BF0: 6804043C
	v_add_u32_e32 v3, s60, v3                                  // 000000004BF4: 6806063C
	v_add_u32_e32 v4, s60, v4                                  // 000000004BF8: 6808083C
	v_mov_b32_e32 v176, 0                                      // 000000004BFC: 7F600280
	s_mov_b64 exec, s[90:91]                                   // 000000004C00: BEFE015A
	buffer_load_dword v176, v1, s[12:15], 0 idxen              // 000000004C04: E0502000 8003B001
	s_mov_b32 exec_lo, -1                                      // 000000004C0C: BEFE00C1
	s_mov_b32 exec_hi, -1                                      // 000000004C10: BEFF00C1
	v_mov_b32_e32 v177, 0                                      // 000000004C14: 7F620280
	s_mov_b64 exec, s[90:91]                                   // 000000004C18: BEFE015A
	buffer_load_dword v177, v2, s[12:15], 0 idxen              // 000000004C1C: E0502000 8003B102
	s_mov_b32 exec_lo, -1                                      // 000000004C24: BEFE00C1
	s_mov_b32 exec_hi, -1                                      // 000000004C28: BEFF00C1
	v_mov_b32_e32 v178, 0                                      // 000000004C2C: 7F640280
	s_mov_b64 exec, s[90:91]                                   // 000000004C30: BEFE015A
	buffer_load_dword v178, v3, s[12:15], 0 idxen              // 000000004C34: E0502000 8003B203
	s_mov_b32 exec_lo, -1                                      // 000000004C3C: BEFE00C1
	s_mov_b32 exec_hi, -1                                      // 000000004C40: BEFF00C1
	v_mov_b32_e32 v179, 0                                      // 000000004C44: 7F660280
	s_mov_b64 exec, s[90:91]                                   // 000000004C48: BEFE015A
	buffer_load_dword v179, v4, s[12:15], 0 idxen              // 000000004C4C: E0502000 8003B304
	s_mov_b32 exec_lo, -1                                      // 000000004C54: BEFE00C1
	s_mov_b32 exec_hi, -1                                      // 000000004C58: BEFF00C1
	s_mul_i32 s60, 4, s6                                       // 000000004C5C: 923C0684
	s_cmp_lt_i32 1, s72                                        // 000000004C60: BF044881
	s_cselect_b32 s60, s60, 0                                  // 000000004C64: 853C803C
	v_add_u32_e32 v1, s60, v1                                  // 000000004C68: 6802023C
	v_add_u32_e32 v2, s60, v2                                  // 000000004C6C: 6804043C
	v_add_u32_e32 v3, s60, v3                                  // 000000004C70: 6806063C
	v_add_u32_e32 v4, s60, v4                                  // 000000004C74: 6808083C
	v_mov_b32_e32 v180, 0                                      // 000000004C78: 7F680280
	s_mov_b64 exec, s[90:91]                                   // 000000004C7C: BEFE015A
	buffer_load_dword v180, v1, s[12:15], 0 idxen              // 000000004C80: E0502000 8003B401
	s_mov_b32 exec_lo, -1                                      // 000000004C88: BEFE00C1
	s_mov_b32 exec_hi, -1                                      // 000000004C8C: BEFF00C1
	v_mov_b32_e32 v181, 0                                      // 000000004C90: 7F6A0280
	s_mov_b64 exec, s[90:91]                                   // 000000004C94: BEFE015A
	buffer_load_dword v181, v2, s[12:15], 0 idxen              // 000000004C98: E0502000 8003B502
	s_mov_b32 exec_lo, -1                                      // 000000004CA0: BEFE00C1
	s_mov_b32 exec_hi, -1                                      // 000000004CA4: BEFF00C1
	v_mov_b32_e32 v182, 0                                      // 000000004CA8: 7F6C0280
	s_mov_b64 exec, s[90:91]                                   // 000000004CAC: BEFE015A
	buffer_load_dword v182, v3, s[12:15], 0 idxen              // 000000004CB0: E0502000 8003B603
	s_mov_b32 exec_lo, -1                                      // 000000004CB8: BEFE00C1
	s_mov_b32 exec_hi, -1                                      // 000000004CBC: BEFF00C1
	v_mov_b32_e32 v183, 0                                      // 000000004CC0: 7F6E0280
	s_mov_b64 exec, s[90:91]                                   // 000000004CC4: BEFE015A
	buffer_load_dword v183, v4, s[12:15], 0 idxen              // 000000004CC8: E0502000 8003B704
	s_mov_b32 exec_lo, -1                                      // 000000004CD0: BEFE00C1
	s_mov_b32 exec_hi, -1                                      // 000000004CD4: BEFF00C1
	s_mul_i32 s60, 4, s6                                       // 000000004CD8: 923C0684
	s_cmp_lt_i32 2, s72                                        // 000000004CDC: BF044882
	s_cselect_b32 s60, s60, 0                                  // 000000004CE0: 853C803C
	v_add_u32_e32 v1, s60, v1                                  // 000000004CE4: 6802023C
	v_add_u32_e32 v2, s60, v2                                  // 000000004CE8: 6804043C
	v_add_u32_e32 v3, s60, v3                                  // 000000004CEC: 6806063C
	v_add_u32_e32 v4, s60, v4                                  // 000000004CF0: 6808083C
	v_mov_b32_e32 v184, 0                                      // 000000004CF4: 7F700280
	s_mov_b64 exec, s[90:91]                                   // 000000004CF8: BEFE015A
	buffer_load_dword v184, v1, s[12:15], 0 idxen              // 000000004CFC: E0502000 8003B801
	s_mov_b32 exec_lo, -1                                      // 000000004D04: BEFE00C1
	s_mov_b32 exec_hi, -1                                      // 000000004D08: BEFF00C1
	v_mov_b32_e32 v185, 0                                      // 000000004D0C: 7F720280
	s_mov_b64 exec, s[90:91]                                   // 000000004D10: BEFE015A
	buffer_load_dword v185, v2, s[12:15], 0 idxen              // 000000004D14: E0502000 8003B902
	s_mov_b32 exec_lo, -1                                      // 000000004D1C: BEFE00C1
	s_mov_b32 exec_hi, -1                                      // 000000004D20: BEFF00C1
	v_mov_b32_e32 v186, 0                                      // 000000004D24: 7F740280
	s_mov_b64 exec, s[90:91]                                   // 000000004D28: BEFE015A
	buffer_load_dword v186, v3, s[12:15], 0 idxen              // 000000004D2C: E0502000 8003BA03
	s_mov_b32 exec_lo, -1                                      // 000000004D34: BEFE00C1
	s_mov_b32 exec_hi, -1                                      // 000000004D38: BEFF00C1
	v_mov_b32_e32 v187, 0                                      // 000000004D3C: 7F760280
	s_mov_b64 exec, s[90:91]                                   // 000000004D40: BEFE015A
	buffer_load_dword v187, v4, s[12:15], 0 idxen              // 000000004D44: E0502000 8003BB04
	s_mov_b32 exec_lo, -1                                      // 000000004D4C: BEFE00C1
	s_mov_b32 exec_hi, -1                                      // 000000004D50: BEFF00C1
	s_mul_i32 s60, 4, s6                                       // 000000004D54: 923C0684
	s_cmp_lt_i32 2, s72                                        // 000000004D58: BF044882
	s_cselect_b32 s60, s60, 0                                  // 000000004D5C: 853C803C
	v_add_u32_e32 v1, s60, v1                                  // 000000004D60: 6802023C
	v_add_u32_e32 v2, s60, v2                                  // 000000004D64: 6804043C
	v_add_u32_e32 v3, s60, v3                                  // 000000004D68: 6806063C
	v_add_u32_e32 v4, s60, v4                                  // 000000004D6C: 6808083C
	v_mov_b32_e32 v188, 0                                      // 000000004D70: 7F780280
	s_mov_b64 exec, s[90:91]                                   // 000000004D74: BEFE015A
	buffer_load_dword v188, v1, s[12:15], 0 idxen              // 000000004D78: E0502000 8003BC01
	s_mov_b32 exec_lo, -1                                      // 000000004D80: BEFE00C1
	s_mov_b32 exec_hi, -1                                      // 000000004D84: BEFF00C1
	v_mov_b32_e32 v189, 0                                      // 000000004D88: 7F7A0280
	s_mov_b64 exec, s[90:91]                                   // 000000004D8C: BEFE015A
	buffer_load_dword v189, v2, s[12:15], 0 idxen              // 000000004D90: E0502000 8003BD02
	s_mov_b32 exec_lo, -1                                      // 000000004D98: BEFE00C1
	s_mov_b32 exec_hi, -1                                      // 000000004D9C: BEFF00C1
	v_mov_b32_e32 v190, 0                                      // 000000004DA0: 7F7C0280
	s_mov_b64 exec, s[90:91]                                   // 000000004DA4: BEFE015A
	buffer_load_dword v190, v3, s[12:15], 0 idxen              // 000000004DA8: E0502000 8003BE03
	s_mov_b32 exec_lo, -1                                      // 000000004DB0: BEFE00C1
	s_mov_b32 exec_hi, -1                                      // 000000004DB4: BEFF00C1
	v_mov_b32_e32 v191, 0                                      // 000000004DB8: 7F7E0280
	s_mov_b64 exec, s[90:91]                                   // 000000004DBC: BEFE015A
	buffer_load_dword v191, v4, s[12:15], 0 idxen              // 000000004DC0: E0502000 8003BF04
	s_mov_b32 exec_lo, -1                                      // 000000004DC8: BEFE00C1
	s_mov_b32 exec_hi, -1                                      // 000000004DCC: BEFF00C1
	s_mul_i32 s60, 4, s6                                       // 000000004DD0: 923C0684
	s_cmp_lt_i32 2, s72                                        // 000000004DD4: BF044882
	s_cselect_b32 s60, s60, 0                                  // 000000004DD8: 853C803C
	v_add_u32_e32 v1, s60, v1                                  // 000000004DDC: 6802023C
	v_add_u32_e32 v2, s60, v2                                  // 000000004DE0: 6804043C
	v_add_u32_e32 v3, s60, v3                                  // 000000004DE4: 6806063C
	v_add_u32_e32 v4, s60, v4                                  // 000000004DE8: 6808083C
	v_mov_b32_e32 v192, 0                                      // 000000004DEC: 7F800280
	s_mov_b64 exec, s[90:91]                                   // 000000004DF0: BEFE015A
	buffer_load_dword v192, v1, s[12:15], 0 idxen              // 000000004DF4: E0502000 8003C001
	s_mov_b32 exec_lo, -1                                      // 000000004DFC: BEFE00C1
	s_mov_b32 exec_hi, -1                                      // 000000004E00: BEFF00C1
	v_mov_b32_e32 v193, 0                                      // 000000004E04: 7F820280
	s_mov_b64 exec, s[90:91]                                   // 000000004E08: BEFE015A
	buffer_load_dword v193, v2, s[12:15], 0 idxen              // 000000004E0C: E0502000 8003C102
	s_mov_b32 exec_lo, -1                                      // 000000004E14: BEFE00C1
	s_mov_b32 exec_hi, -1                                      // 000000004E18: BEFF00C1
	v_mov_b32_e32 v194, 0                                      // 000000004E1C: 7F840280
	s_mov_b64 exec, s[90:91]                                   // 000000004E20: BEFE015A
	buffer_load_dword v194, v3, s[12:15], 0 idxen              // 000000004E24: E0502000 8003C203
	s_mov_b32 exec_lo, -1                                      // 000000004E2C: BEFE00C1
	s_mov_b32 exec_hi, -1                                      // 000000004E30: BEFF00C1
	v_mov_b32_e32 v195, 0                                      // 000000004E34: 7F860280
	s_mov_b64 exec, s[90:91]                                   // 000000004E38: BEFE015A
	buffer_load_dword v195, v4, s[12:15], 0 idxen              // 000000004E3C: E0502000 8003C304
	s_mov_b32 exec_lo, -1                                      // 000000004E44: BEFE00C1
	s_mov_b32 exec_hi, -1                                      // 000000004E48: BEFF00C1
	s_mul_i32 s60, 4, s6                                       // 000000004E4C: 923C0684
	s_cmp_lt_i32 2, s72                                        // 000000004E50: BF044882
	s_cselect_b32 s60, s60, 0                                  // 000000004E54: 853C803C
	v_add_u32_e32 v1, s60, v1                                  // 000000004E58: 6802023C
	v_add_u32_e32 v2, s60, v2                                  // 000000004E5C: 6804043C
	v_add_u32_e32 v3, s60, v3                                  // 000000004E60: 6806063C
	v_add_u32_e32 v4, s60, v4                                  // 000000004E64: 6808083C
	v_mov_b32_e32 v196, 0                                      // 000000004E68: 7F880280
	s_mov_b64 exec, s[90:91]                                   // 000000004E6C: BEFE015A
	buffer_load_dword v196, v1, s[12:15], 0 idxen              // 000000004E70: E0502000 8003C401
	s_mov_b32 exec_lo, -1                                      // 000000004E78: BEFE00C1
	s_mov_b32 exec_hi, -1                                      // 000000004E7C: BEFF00C1
	v_mov_b32_e32 v197, 0                                      // 000000004E80: 7F8A0280
	s_mov_b64 exec, s[90:91]                                   // 000000004E84: BEFE015A
	buffer_load_dword v197, v2, s[12:15], 0 idxen              // 000000004E88: E0502000 8003C502
	s_mov_b32 exec_lo, -1                                      // 000000004E90: BEFE00C1
	s_mov_b32 exec_hi, -1                                      // 000000004E94: BEFF00C1
	v_mov_b32_e32 v198, 0                                      // 000000004E98: 7F8C0280
	s_mov_b64 exec, s[90:91]                                   // 000000004E9C: BEFE015A
	buffer_load_dword v198, v3, s[12:15], 0 idxen              // 000000004EA0: E0502000 8003C603
	s_mov_b32 exec_lo, -1                                      // 000000004EA8: BEFE00C1
	s_mov_b32 exec_hi, -1                                      // 000000004EAC: BEFF00C1
	v_mov_b32_e32 v199, 0                                      // 000000004EB0: 7F8E0280
	s_mov_b64 exec, s[90:91]                                   // 000000004EB4: BEFE015A
	buffer_load_dword v199, v4, s[12:15], 0 idxen              // 000000004EB8: E0502000 8003C704
	s_mov_b32 exec_lo, -1                                      // 000000004EC0: BEFE00C1
	s_mov_b32 exec_hi, -1                                      // 000000004EC4: BEFF00C1
	s_mul_i32 s60, 4, s6                                       // 000000004EC8: 923C0684
	s_cmp_lt_i32 3, s72                                        // 000000004ECC: BF044883
	s_cselect_b32 s60, s60, 0                                  // 000000004ED0: 853C803C
	v_add_u32_e32 v1, s60, v1                                  // 000000004ED4: 6802023C
	v_add_u32_e32 v2, s60, v2                                  // 000000004ED8: 6804043C
	v_add_u32_e32 v3, s60, v3                                  // 000000004EDC: 6806063C
	v_add_u32_e32 v4, s60, v4                                  // 000000004EE0: 6808083C
	s_waitcnt vmcnt(32) lgkmcnt(0)                             // 000000004EE4: BF8C8070
	s_barrier                                                  // 000000004EE8: BF8A0000
	s_cmp_lt_i32 0, s72                                        // 000000004EEC: BF044880
	s_cbranch_scc1 label_044D                                  // 000000004EF0: BF850010
	v_mov_b32_e32 v152, 0                                      // 000000004EF4: 7F300280
	v_mov_b32_e32 v153, 0                                      // 000000004EF8: 7F320280
	v_mov_b32_e32 v154, 0                                      // 000000004EFC: 7F340280
	v_mov_b32_e32 v155, 0                                      // 000000004F00: 7F360280
	v_mov_b32_e32 v156, 0                                      // 000000004F04: 7F380280
	v_mov_b32_e32 v157, 0                                      // 000000004F08: 7F3A0280
	v_mov_b32_e32 v158, 0                                      // 000000004F0C: 7F3C0280
	v_mov_b32_e32 v159, 0                                      // 000000004F10: 7F3E0280
	v_mov_b32_e32 v160, 0                                      // 000000004F14: 7F400280
	v_mov_b32_e32 v161, 0                                      // 000000004F18: 7F420280
	v_mov_b32_e32 v162, 0                                      // 000000004F1C: 7F440280
	v_mov_b32_e32 v163, 0                                      // 000000004F20: 7F460280
	v_mov_b32_e32 v164, 0                                      // 000000004F24: 7F480280
	v_mov_b32_e32 v165, 0                                      // 000000004F28: 7F4A0280
	v_mov_b32_e32 v166, 0                                      // 000000004F2C: 7F4C0280
	v_mov_b32_e32 v167, 0                                      // 000000004F30: 7F4E0280

0000000000004f34 <label_044D>:
	v_perm_b32 v200, v153, v152, s63                           // 000000004F34: D1ED00C8 00FF3199
	v_perm_b32 v201, v153, v152, s64                           // 000000004F3C: D1ED00C9 01033199
	v_perm_b32 v202, v155, v154, s63                           // 000000004F44: D1ED00CA 00FF359B
	v_perm_b32 v203, v155, v154, s64                           // 000000004F4C: D1ED00CB 0103359B
	v_perm_b32 v204, v157, v156, s63                           // 000000004F54: D1ED00CC 00FF399D
	v_perm_b32 v205, v157, v156, s64                           // 000000004F5C: D1ED00CD 0103399D
	v_perm_b32 v206, v159, v158, s63                           // 000000004F64: D1ED00CE 00FF3D9F
	v_perm_b32 v207, v159, v158, s64                           // 000000004F6C: D1ED00CF 01033D9F
	v_perm_b32 v208, v161, v160, s63                           // 000000004F74: D1ED00D0 00FF41A1
	v_perm_b32 v209, v161, v160, s64                           // 000000004F7C: D1ED00D1 010341A1
	v_perm_b32 v210, v163, v162, s63                           // 000000004F84: D1ED00D2 00FF45A3
	v_perm_b32 v211, v163, v162, s64                           // 000000004F8C: D1ED00D3 010345A3
	v_perm_b32 v212, v165, v164, s63                           // 000000004F94: D1ED00D4 00FF49A5
	v_perm_b32 v213, v165, v164, s64                           // 000000004F9C: D1ED00D5 010349A5
	v_perm_b32 v214, v167, v166, s63                           // 000000004FA4: D1ED00D6 00FF4DA7
	v_perm_b32 v215, v167, v166, s64                           // 000000004FAC: D1ED00D7 01034DA7
	ds_write_b32 v13, v200 offset:17408                        // 000000004FB4: D81A4400 0000C80D
	ds_write_b32 v13, v201 offset:18464                        // 000000004FBC: D81A4820 0000C90D
	ds_write_b32 v13, v202 offset:17536                        // 000000004FC4: D81A4480 0000CA0D
	ds_write_b32 v13, v203 offset:18592                        // 000000004FCC: D81A48A0 0000CB0D
	ds_write_b32 v13, v204 offset:21760                        // 000000004FD4: D81A5500 0000CC0D
	ds_write_b32 v13, v205 offset:22816                        // 000000004FDC: D81A5920 0000CD0D
	ds_write_b32 v13, v206 offset:21888                        // 000000004FE4: D81A5580 0000CE0D
	ds_write_b32 v13, v207 offset:22944                        // 000000004FEC: D81A59A0 0000CF0D
	ds_write_b32 v13, v208 offset:26112                        // 000000004FF4: D81A6600 0000D00D
	ds_write_b32 v13, v209 offset:27168                        // 000000004FFC: D81A6A20 0000D10D
	ds_write_b32 v13, v210 offset:26240                        // 000000005004: D81A6680 0000D20D
	ds_write_b32 v13, v211 offset:27296                        // 00000000500C: D81A6AA0 0000D30D
	ds_write_b32 v13, v212 offset:30464                        // 000000005014: D81A7700 0000D40D
	ds_write_b32 v13, v213 offset:31520                        // 00000000501C: D81A7B20 0000D50D
	ds_write_b32 v13, v214 offset:30592                        // 000000005024: D81A7780 0000D60D
	ds_write_b32 v13, v215 offset:31648                        // 00000000502C: D81A7BA0 0000D70D
	ds_write_b32 v11, v152                                     // 000000005034: D81A0000 0000980B
	ds_write_b32 v11, v153 offset:1056                         // 00000000503C: D81A0420 0000990B
	ds_write_b32 v11, v154 offset:128                          // 000000005044: D81A0080 00009A0B
	ds_write_b32 v11, v155 offset:1184                         // 00000000504C: D81A04A0 00009B0B
	ds_write_b32 v11, v156 offset:4352                         // 000000005054: D81A1100 00009C0B
	ds_write_b32 v11, v157 offset:5408                         // 00000000505C: D81A1520 00009D0B
	ds_write_b32 v11, v158 offset:4480                         // 000000005064: D81A1180 00009E0B
	ds_write_b32 v11, v159 offset:5536                         // 00000000506C: D81A15A0 00009F0B
	ds_write_b32 v11, v160 offset:8704                         // 000000005074: D81A2200 0000A00B
	ds_write_b32 v11, v161 offset:9760                         // 00000000507C: D81A2620 0000A10B
	ds_write_b32 v11, v162 offset:8832                         // 000000005084: D81A2280 0000A20B
	ds_write_b32 v11, v163 offset:9888                         // 00000000508C: D81A26A0 0000A30B
	ds_write_b32 v11, v164 offset:13056                        // 000000005094: D81A3300 0000A40B
	ds_write_b32 v11, v165 offset:14112                        // 00000000509C: D81A3720 0000A50B
	ds_write_b32 v11, v166 offset:13184                        // 0000000050A4: D81A3380 0000A60B
	ds_write_b32 v11, v167 offset:14240                        // 0000000050AC: D81A37A0 0000A70B
	v_mov_b32_e32 v152, 0                                      // 0000000050B4: 7F300280
	s_mov_b64 exec, s[90:91]                                   // 0000000050B8: BEFE015A
	buffer_load_dword v152, v252, s[16:19], 0 idxen            // 0000000050BC: E0502000 800498FC
	s_mov_b32 exec_lo, -1                                      // 0000000050C4: BEFE00C1
	s_mov_b32 exec_hi, -1                                      // 0000000050C8: BEFF00C1
	v_mov_b32_e32 v153, 0                                      // 0000000050CC: 7F320280
	s_mov_b64 exec, s[90:91]                                   // 0000000050D0: BEFE015A
	buffer_load_dword v153, v253, s[16:19], 0 idxen            // 0000000050D4: E0502000 800499FD
	s_mov_b32 exec_lo, -1                                      // 0000000050DC: BEFE00C1
	s_mov_b32 exec_hi, -1                                      // 0000000050E0: BEFF00C1
	v_mov_b32_e32 v154, 0                                      // 0000000050E4: 7F340280
	s_mov_b64 exec, s[90:91]                                   // 0000000050E8: BEFE015A
	buffer_load_dword v154, v254, s[16:19], 0 idxen            // 0000000050EC: E0502000 80049AFE
	s_mov_b32 exec_lo, -1                                      // 0000000050F4: BEFE00C1
	s_mov_b32 exec_hi, -1                                      // 0000000050F8: BEFF00C1
	v_mov_b32_e32 v155, 0                                      // 0000000050FC: 7F360280
	s_mov_b64 exec, s[90:91]                                   // 000000005100: BEFE015A
	buffer_load_dword v155, v255, s[16:19], 0 idxen            // 000000005104: E0502000 80049BFF
	s_mov_b32 exec_lo, -1                                      // 00000000510C: BEFE00C1
	s_mov_b32 exec_hi, -1                                      // 000000005110: BEFF00C1
	s_mul_i32 s60, 4, s7                                       // 000000005114: 923C0784
	s_cmp_lt_i32 0, s72                                        // 000000005118: BF044880
	s_cselect_b32 s60, s60, 0                                  // 00000000511C: 853C803C
	v_add_u32_e32 v252, s60, v252                              // 000000005120: 69F9F83C
	v_add_u32_e32 v253, s60, v253                              // 000000005124: 69FBFA3C
	v_add_u32_e32 v254, s60, v254                              // 000000005128: 69FDFC3C
	v_add_u32_e32 v255, s60, v255                              // 00000000512C: 69FFFE3C
	v_mov_b32_e32 v156, 0                                      // 000000005130: 7F380280
	s_mov_b64 exec, s[90:91]                                   // 000000005134: BEFE015A
	buffer_load_dword v156, v252, s[16:19], 0 idxen            // 000000005138: E0502000 80049CFC
	s_mov_b32 exec_lo, -1                                      // 000000005140: BEFE00C1
	s_mov_b32 exec_hi, -1                                      // 000000005144: BEFF00C1
	v_mov_b32_e32 v157, 0                                      // 000000005148: 7F3A0280
	s_mov_b64 exec, s[90:91]                                   // 00000000514C: BEFE015A
	buffer_load_dword v157, v253, s[16:19], 0 idxen            // 000000005150: E0502000 80049DFD
	s_mov_b32 exec_lo, -1                                      // 000000005158: BEFE00C1
	s_mov_b32 exec_hi, -1                                      // 00000000515C: BEFF00C1
	v_mov_b32_e32 v158, 0                                      // 000000005160: 7F3C0280
	s_mov_b64 exec, s[90:91]                                   // 000000005164: BEFE015A
	buffer_load_dword v158, v254, s[16:19], 0 idxen            // 000000005168: E0502000 80049EFE
	s_mov_b32 exec_lo, -1                                      // 000000005170: BEFE00C1
	s_mov_b32 exec_hi, -1                                      // 000000005174: BEFF00C1
	v_mov_b32_e32 v159, 0                                      // 000000005178: 7F3E0280
	s_mov_b64 exec, s[90:91]                                   // 00000000517C: BEFE015A
	buffer_load_dword v159, v255, s[16:19], 0 idxen            // 000000005180: E0502000 80049FFF
	s_mov_b32 exec_lo, -1                                      // 000000005188: BEFE00C1
	s_mov_b32 exec_hi, -1                                      // 00000000518C: BEFF00C1
	s_mul_i32 s60, 4, s7                                       // 000000005190: 923C0784
	s_cmp_lt_i32 0, s72                                        // 000000005194: BF044880
	s_cselect_b32 s60, s60, 0                                  // 000000005198: 853C803C
	v_add_u32_e32 v252, s60, v252                              // 00000000519C: 69F9F83C
	v_add_u32_e32 v253, s60, v253                              // 0000000051A0: 69FBFA3C
	v_add_u32_e32 v254, s60, v254                              // 0000000051A4: 69FDFC3C
	v_add_u32_e32 v255, s60, v255                              // 0000000051A8: 69FFFE3C
	v_mov_b32_e32 v160, 0                                      // 0000000051AC: 7F400280
	s_mov_b64 exec, s[90:91]                                   // 0000000051B0: BEFE015A
	buffer_load_dword v160, v252, s[16:19], 0 idxen            // 0000000051B4: E0502000 8004A0FC
	s_mov_b32 exec_lo, -1                                      // 0000000051BC: BEFE00C1
	s_mov_b32 exec_hi, -1                                      // 0000000051C0: BEFF00C1
	v_mov_b32_e32 v161, 0                                      // 0000000051C4: 7F420280
	s_mov_b64 exec, s[90:91]                                   // 0000000051C8: BEFE015A
	buffer_load_dword v161, v253, s[16:19], 0 idxen            // 0000000051CC: E0502000 8004A1FD
	s_mov_b32 exec_lo, -1                                      // 0000000051D4: BEFE00C1
	s_mov_b32 exec_hi, -1                                      // 0000000051D8: BEFF00C1
	v_mov_b32_e32 v162, 0                                      // 0000000051DC: 7F440280
	s_mov_b64 exec, s[90:91]                                   // 0000000051E0: BEFE015A
	buffer_load_dword v162, v254, s[16:19], 0 idxen            // 0000000051E4: E0502000 8004A2FE
	s_mov_b32 exec_lo, -1                                      // 0000000051EC: BEFE00C1
	s_mov_b32 exec_hi, -1                                      // 0000000051F0: BEFF00C1
	v_mov_b32_e32 v163, 0                                      // 0000000051F4: 7F460280
	s_mov_b64 exec, s[90:91]                                   // 0000000051F8: BEFE015A
	buffer_load_dword v163, v255, s[16:19], 0 idxen            // 0000000051FC: E0502000 8004A3FF
	s_mov_b32 exec_lo, -1                                      // 000000005204: BEFE00C1
	s_mov_b32 exec_hi, -1                                      // 000000005208: BEFF00C1
	s_mul_i32 s60, 4, s7                                       // 00000000520C: 923C0784
	s_cmp_lt_i32 0, s72                                        // 000000005210: BF044880
	s_cselect_b32 s60, s60, 0                                  // 000000005214: 853C803C
	v_add_u32_e32 v252, s60, v252                              // 000000005218: 69F9F83C
	v_add_u32_e32 v253, s60, v253                              // 00000000521C: 69FBFA3C
	v_add_u32_e32 v254, s60, v254                              // 000000005220: 69FDFC3C
	v_add_u32_e32 v255, s60, v255                              // 000000005224: 69FFFE3C
	v_mov_b32_e32 v164, 0                                      // 000000005228: 7F480280
	s_mov_b64 exec, s[90:91]                                   // 00000000522C: BEFE015A
	buffer_load_dword v164, v252, s[16:19], 0 idxen            // 000000005230: E0502000 8004A4FC
	s_mov_b32 exec_lo, -1                                      // 000000005238: BEFE00C1
	s_mov_b32 exec_hi, -1                                      // 00000000523C: BEFF00C1
	v_mov_b32_e32 v165, 0                                      // 000000005240: 7F4A0280
	s_mov_b64 exec, s[90:91]                                   // 000000005244: BEFE015A
	buffer_load_dword v165, v253, s[16:19], 0 idxen            // 000000005248: E0502000 8004A5FD
	s_mov_b32 exec_lo, -1                                      // 000000005250: BEFE00C1
	s_mov_b32 exec_hi, -1                                      // 000000005254: BEFF00C1
	v_mov_b32_e32 v166, 0                                      // 000000005258: 7F4C0280
	s_mov_b64 exec, s[90:91]                                   // 00000000525C: BEFE015A
	buffer_load_dword v166, v254, s[16:19], 0 idxen            // 000000005260: E0502000 8004A6FE
	s_mov_b32 exec_lo, -1                                      // 000000005268: BEFE00C1
	s_mov_b32 exec_hi, -1                                      // 00000000526C: BEFF00C1
	v_mov_b32_e32 v167, 0                                      // 000000005270: 7F4E0280
	s_mov_b64 exec, s[90:91]                                   // 000000005274: BEFE015A
	buffer_load_dword v167, v255, s[16:19], 0 idxen            // 000000005278: E0502000 8004A7FF
	s_mov_b32 exec_lo, -1                                      // 000000005280: BEFE00C1
	s_mov_b32 exec_hi, -1                                      // 000000005284: BEFF00C1
	s_mul_i32 s60, 4, s7                                       // 000000005288: 923C0784
	s_cmp_lt_i32 1, s72                                        // 00000000528C: BF044881
	s_cselect_b32 s60, s60, 0                                  // 000000005290: 853C803C
	v_add_u32_e32 v252, s60, v252                              // 000000005294: 69F9F83C
	v_add_u32_e32 v253, s60, v253                              // 000000005298: 69FBFA3C
	v_add_u32_e32 v254, s60, v254                              // 00000000529C: 69FDFC3C
	v_add_u32_e32 v255, s60, v255                              // 0000000052A0: 69FFFE3C
	s_waitcnt lgkmcnt(0)                                       // 0000000052A4: BF8CC07F
	s_barrier                                                  // 0000000052A8: BF8A0000
	ds_read_b128 a[48:51], v23 offset:17408                    // 0000000052AC: DBFE4400 30000017
	ds_read_b128 a[52:55], v23 offset:17664                    // 0000000052B4: DBFE4500 34000017
	ds_read_b128 a[56:59], v23 offset:26112                    // 0000000052BC: DBFE6600 38000017
	ds_read_b128 a[60:63], v23 offset:26368                    // 0000000052C4: DBFE6700 3C000017
	ds_read_b128 a[0:3], v22                                   // 0000000052CC: DBFE0000 00000016
	ds_read_b128 a[4:7], v22 offset:512                        // 0000000052D4: DBFE0200 04000016
	ds_read_b128 a[8:11], v22 offset:2176                      // 0000000052DC: DBFE0880 08000016
	ds_read_b128 a[12:15], v22 offset:2688                     // 0000000052E4: DBFE0A80 0C000016
	s_waitcnt vmcnt(32) lgkmcnt(0)                             // 0000000052EC: BF8C8070
	s_barrier                                                  // 0000000052F0: BF8A0000
	s_cmp_lt_i32 1, s72                                        // 0000000052F4: BF044881
	s_cbranch_scc1 label_054F                                  // 0000000052F8: BF850010
	v_mov_b32_e32 v168, 0                                      // 0000000052FC: 7F500280
	v_mov_b32_e32 v169, 0                                      // 000000005300: 7F520280
	v_mov_b32_e32 v170, 0                                      // 000000005304: 7F540280
	v_mov_b32_e32 v171, 0                                      // 000000005308: 7F560280
	v_mov_b32_e32 v172, 0                                      // 00000000530C: 7F580280
	v_mov_b32_e32 v173, 0                                      // 000000005310: 7F5A0280
	v_mov_b32_e32 v174, 0                                      // 000000005314: 7F5C0280
	v_mov_b32_e32 v175, 0                                      // 000000005318: 7F5E0280
	v_mov_b32_e32 v176, 0                                      // 00000000531C: 7F600280
	v_mov_b32_e32 v177, 0                                      // 000000005320: 7F620280
	v_mov_b32_e32 v178, 0                                      // 000000005324: 7F640280
	v_mov_b32_e32 v179, 0                                      // 000000005328: 7F660280
	v_mov_b32_e32 v180, 0                                      // 00000000532C: 7F680280
	v_mov_b32_e32 v181, 0                                      // 000000005330: 7F6A0280
	v_mov_b32_e32 v182, 0                                      // 000000005334: 7F6C0280
	v_mov_b32_e32 v183, 0                                      // 000000005338: 7F6E0280

000000000000533c <label_054F>:
	v_perm_b32 v200, v169, v168, s63                           // 00000000533C: D1ED00C8 00FF51A9
	v_perm_b32 v201, v169, v168, s64                           // 000000005344: D1ED00C9 010351A9
	v_perm_b32 v202, v171, v170, s63                           // 00000000534C: D1ED00CA 00FF55AB
	v_perm_b32 v203, v171, v170, s64                           // 000000005354: D1ED00CB 010355AB
	v_perm_b32 v204, v173, v172, s63                           // 00000000535C: D1ED00CC 00FF59AD
	v_perm_b32 v205, v173, v172, s64                           // 000000005364: D1ED00CD 010359AD
	v_perm_b32 v206, v175, v174, s63                           // 00000000536C: D1ED00CE 00FF5DAF
	v_perm_b32 v207, v175, v174, s64                           // 000000005374: D1ED00CF 01035DAF
	v_perm_b32 v208, v177, v176, s63                           // 00000000537C: D1ED00D0 00FF61B1
	v_perm_b32 v209, v177, v176, s64                           // 000000005384: D1ED00D1 010361B1
	v_perm_b32 v210, v179, v178, s63                           // 00000000538C: D1ED00D2 00FF65B3
	v_perm_b32 v211, v179, v178, s64                           // 000000005394: D1ED00D3 010365B3
	v_perm_b32 v212, v181, v180, s63                           // 00000000539C: D1ED00D4 00FF69B5
	v_perm_b32 v213, v181, v180, s64                           // 0000000053A4: D1ED00D5 010369B5
	v_perm_b32 v214, v183, v182, s63                           // 0000000053AC: D1ED00D6 00FF6DB7
	v_perm_b32 v215, v183, v182, s64                           // 0000000053B4: D1ED00D7 01036DB7
	ds_write_b32 v13, v200 offset:17408                        // 0000000053BC: D81A4400 0000C80D
	ds_write_b32 v13, v201 offset:18464                        // 0000000053C4: D81A4820 0000C90D
	ds_write_b32 v13, v202 offset:17536                        // 0000000053CC: D81A4480 0000CA0D
	ds_write_b32 v13, v203 offset:18592                        // 0000000053D4: D81A48A0 0000CB0D
	ds_write_b32 v13, v204 offset:21760                        // 0000000053DC: D81A5500 0000CC0D
	ds_write_b32 v13, v205 offset:22816                        // 0000000053E4: D81A5920 0000CD0D
	ds_write_b32 v13, v206 offset:21888                        // 0000000053EC: D81A5580 0000CE0D
	ds_write_b32 v13, v207 offset:22944                        // 0000000053F4: D81A59A0 0000CF0D
	ds_write_b32 v13, v208 offset:26112                        // 0000000053FC: D81A6600 0000D00D
	ds_write_b32 v13, v209 offset:27168                        // 000000005404: D81A6A20 0000D10D
	ds_write_b32 v13, v210 offset:26240                        // 00000000540C: D81A6680 0000D20D
	ds_write_b32 v13, v211 offset:27296                        // 000000005414: D81A6AA0 0000D30D
	ds_write_b32 v13, v212 offset:30464                        // 00000000541C: D81A7700 0000D40D
	ds_write_b32 v13, v213 offset:31520                        // 000000005424: D81A7B20 0000D50D
	ds_write_b32 v13, v214 offset:30592                        // 00000000542C: D81A7780 0000D60D
	ds_write_b32 v13, v215 offset:31648                        // 000000005434: D81A7BA0 0000D70D
	ds_write_b32 v11, v168                                     // 00000000543C: D81A0000 0000A80B
	ds_write_b32 v11, v169 offset:1056                         // 000000005444: D81A0420 0000A90B
	ds_write_b32 v11, v170 offset:128                          // 00000000544C: D81A0080 0000AA0B
	ds_write_b32 v11, v171 offset:1184                         // 000000005454: D81A04A0 0000AB0B
	ds_write_b32 v11, v172 offset:4352                         // 00000000545C: D81A1100 0000AC0B
	ds_write_b32 v11, v173 offset:5408                         // 000000005464: D81A1520 0000AD0B
	ds_write_b32 v11, v174 offset:4480                         // 00000000546C: D81A1180 0000AE0B
	ds_write_b32 v11, v175 offset:5536                         // 000000005474: D81A15A0 0000AF0B
	ds_write_b32 v11, v176 offset:8704                         // 00000000547C: D81A2200 0000B00B
	ds_write_b32 v11, v177 offset:9760                         // 000000005484: D81A2620 0000B10B
	ds_write_b32 v11, v178 offset:8832                         // 00000000548C: D81A2280 0000B20B
	ds_write_b32 v11, v179 offset:9888                         // 000000005494: D81A26A0 0000B30B
	ds_write_b32 v11, v180 offset:13056                        // 00000000549C: D81A3300 0000B40B
	ds_write_b32 v11, v181 offset:14112                        // 0000000054A4: D81A3720 0000B50B
	ds_write_b32 v11, v182 offset:13184                        // 0000000054AC: D81A3380 0000B60B
	ds_write_b32 v11, v183 offset:14240                        // 0000000054B4: D81A37A0 0000B70B
	v_mov_b32_e32 v168, 0                                      // 0000000054BC: 7F500280
	s_mov_b64 exec, s[90:91]                                   // 0000000054C0: BEFE015A
	buffer_load_dword v168, v252, s[16:19], 0 idxen            // 0000000054C4: E0502000 8004A8FC
	s_mov_b32 exec_lo, -1                                      // 0000000054CC: BEFE00C1
	s_mov_b32 exec_hi, -1                                      // 0000000054D0: BEFF00C1
	v_mov_b32_e32 v169, 0                                      // 0000000054D4: 7F520280
	s_mov_b64 exec, s[90:91]                                   // 0000000054D8: BEFE015A
	buffer_load_dword v169, v253, s[16:19], 0 idxen            // 0000000054DC: E0502000 8004A9FD
	s_mov_b32 exec_lo, -1                                      // 0000000054E4: BEFE00C1
	s_mov_b32 exec_hi, -1                                      // 0000000054E8: BEFF00C1
	v_mov_b32_e32 v170, 0                                      // 0000000054EC: 7F540280
	s_mov_b64 exec, s[90:91]                                   // 0000000054F0: BEFE015A
	buffer_load_dword v170, v254, s[16:19], 0 idxen            // 0000000054F4: E0502000 8004AAFE
	s_mov_b32 exec_lo, -1                                      // 0000000054FC: BEFE00C1
	s_mov_b32 exec_hi, -1                                      // 000000005500: BEFF00C1
	v_mov_b32_e32 v171, 0                                      // 000000005504: 7F560280
	s_mov_b64 exec, s[90:91]                                   // 000000005508: BEFE015A
	buffer_load_dword v171, v255, s[16:19], 0 idxen            // 00000000550C: E0502000 8004ABFF
	s_mov_b32 exec_lo, -1                                      // 000000005514: BEFE00C1
	s_mov_b32 exec_hi, -1                                      // 000000005518: BEFF00C1
	s_mul_i32 s60, 4, s7                                       // 00000000551C: 923C0784
	s_cmp_lt_i32 1, s72                                        // 000000005520: BF044881
	s_cselect_b32 s60, s60, 0                                  // 000000005524: 853C803C
	v_add_u32_e32 v252, s60, v252                              // 000000005528: 69F9F83C
	v_add_u32_e32 v253, s60, v253                              // 00000000552C: 69FBFA3C
	v_add_u32_e32 v254, s60, v254                              // 000000005530: 69FDFC3C
	v_add_u32_e32 v255, s60, v255                              // 000000005534: 69FFFE3C
	v_mov_b32_e32 v172, 0                                      // 000000005538: 7F580280
	s_mov_b64 exec, s[90:91]                                   // 00000000553C: BEFE015A
	buffer_load_dword v172, v252, s[16:19], 0 idxen            // 000000005540: E0502000 8004ACFC
	s_mov_b32 exec_lo, -1                                      // 000000005548: BEFE00C1
	s_mov_b32 exec_hi, -1                                      // 00000000554C: BEFF00C1
	v_mov_b32_e32 v173, 0                                      // 000000005550: 7F5A0280
	s_mov_b64 exec, s[90:91]                                   // 000000005554: BEFE015A
	buffer_load_dword v173, v253, s[16:19], 0 idxen            // 000000005558: E0502000 8004ADFD
	s_mov_b32 exec_lo, -1                                      // 000000005560: BEFE00C1
	s_mov_b32 exec_hi, -1                                      // 000000005564: BEFF00C1
	v_mov_b32_e32 v174, 0                                      // 000000005568: 7F5C0280
	s_mov_b64 exec, s[90:91]                                   // 00000000556C: BEFE015A
	buffer_load_dword v174, v254, s[16:19], 0 idxen            // 000000005570: E0502000 8004AEFE
	s_mov_b32 exec_lo, -1                                      // 000000005578: BEFE00C1
	s_mov_b32 exec_hi, -1                                      // 00000000557C: BEFF00C1
	v_mov_b32_e32 v175, 0                                      // 000000005580: 7F5E0280
	s_mov_b64 exec, s[90:91]                                   // 000000005584: BEFE015A
	buffer_load_dword v175, v255, s[16:19], 0 idxen            // 000000005588: E0502000 8004AFFF
	s_mov_b32 exec_lo, -1                                      // 000000005590: BEFE00C1
	s_mov_b32 exec_hi, -1                                      // 000000005594: BEFF00C1
	s_mul_i32 s60, 4, s7                                       // 000000005598: 923C0784
	s_cmp_lt_i32 1, s72                                        // 00000000559C: BF044881
	s_cselect_b32 s60, s60, 0                                  // 0000000055A0: 853C803C
	v_add_u32_e32 v252, s60, v252                              // 0000000055A4: 69F9F83C
	v_add_u32_e32 v253, s60, v253                              // 0000000055A8: 69FBFA3C
	v_add_u32_e32 v254, s60, v254                              // 0000000055AC: 69FDFC3C
	v_add_u32_e32 v255, s60, v255                              // 0000000055B0: 69FFFE3C
	v_mov_b32_e32 v176, 0                                      // 0000000055B4: 7F600280
	s_mov_b64 exec, s[90:91]                                   // 0000000055B8: BEFE015A
	buffer_load_dword v176, v252, s[16:19], 0 idxen            // 0000000055BC: E0502000 8004B0FC
	s_mov_b32 exec_lo, -1                                      // 0000000055C4: BEFE00C1
	s_mov_b32 exec_hi, -1                                      // 0000000055C8: BEFF00C1
	v_mov_b32_e32 v177, 0                                      // 0000000055CC: 7F620280
	s_mov_b64 exec, s[90:91]                                   // 0000000055D0: BEFE015A
	buffer_load_dword v177, v253, s[16:19], 0 idxen            // 0000000055D4: E0502000 8004B1FD
	s_mov_b32 exec_lo, -1                                      // 0000000055DC: BEFE00C1
	s_mov_b32 exec_hi, -1                                      // 0000000055E0: BEFF00C1
	v_mov_b32_e32 v178, 0                                      // 0000000055E4: 7F640280
	s_mov_b64 exec, s[90:91]                                   // 0000000055E8: BEFE015A
	buffer_load_dword v178, v254, s[16:19], 0 idxen            // 0000000055EC: E0502000 8004B2FE
	s_mov_b32 exec_lo, -1                                      // 0000000055F4: BEFE00C1
	s_mov_b32 exec_hi, -1                                      // 0000000055F8: BEFF00C1
	v_mov_b32_e32 v179, 0                                      // 0000000055FC: 7F660280
	s_mov_b64 exec, s[90:91]                                   // 000000005600: BEFE015A
	buffer_load_dword v179, v255, s[16:19], 0 idxen            // 000000005604: E0502000 8004B3FF
	s_mov_b32 exec_lo, -1                                      // 00000000560C: BEFE00C1
	s_mov_b32 exec_hi, -1                                      // 000000005610: BEFF00C1
	s_mul_i32 s60, 4, s7                                       // 000000005614: 923C0784
	s_cmp_lt_i32 1, s72                                        // 000000005618: BF044881
	s_cselect_b32 s60, s60, 0                                  // 00000000561C: 853C803C
	v_add_u32_e32 v252, s60, v252                              // 000000005620: 69F9F83C
	v_add_u32_e32 v253, s60, v253                              // 000000005624: 69FBFA3C
	v_add_u32_e32 v254, s60, v254                              // 000000005628: 69FDFC3C
	v_add_u32_e32 v255, s60, v255                              // 00000000562C: 69FFFE3C
	v_mov_b32_e32 v180, 0                                      // 000000005630: 7F680280
	s_mov_b64 exec, s[90:91]                                   // 000000005634: BEFE015A
	buffer_load_dword v180, v252, s[16:19], 0 idxen            // 000000005638: E0502000 8004B4FC
	s_mov_b32 exec_lo, -1                                      // 000000005640: BEFE00C1
	s_mov_b32 exec_hi, -1                                      // 000000005644: BEFF00C1
	v_mov_b32_e32 v181, 0                                      // 000000005648: 7F6A0280
	s_mov_b64 exec, s[90:91]                                   // 00000000564C: BEFE015A
	buffer_load_dword v181, v253, s[16:19], 0 idxen            // 000000005650: E0502000 8004B5FD
	s_mov_b32 exec_lo, -1                                      // 000000005658: BEFE00C1
	s_mov_b32 exec_hi, -1                                      // 00000000565C: BEFF00C1
	v_mov_b32_e32 v182, 0                                      // 000000005660: 7F6C0280
	s_mov_b64 exec, s[90:91]                                   // 000000005664: BEFE015A
	buffer_load_dword v182, v254, s[16:19], 0 idxen            // 000000005668: E0502000 8004B6FE
	s_mov_b32 exec_lo, -1                                      // 000000005670: BEFE00C1
	s_mov_b32 exec_hi, -1                                      // 000000005674: BEFF00C1
	v_mov_b32_e32 v183, 0                                      // 000000005678: 7F6E0280
	s_mov_b64 exec, s[90:91]                                   // 00000000567C: BEFE015A
	buffer_load_dword v183, v255, s[16:19], 0 idxen            // 000000005680: E0502000 8004B7FF
	s_mov_b32 exec_lo, -1                                      // 000000005688: BEFE00C1
	s_mov_b32 exec_hi, -1                                      // 00000000568C: BEFF00C1
	s_mul_i32 s60, 4, s7                                       // 000000005690: 923C0784
	s_cmp_lt_i32 2, s72                                        // 000000005694: BF044882
	s_cselect_b32 s60, s60, 0                                  // 000000005698: 853C803C
	v_add_u32_e32 v252, s60, v252                              // 00000000569C: 69F9F83C
	v_add_u32_e32 v253, s60, v253                              // 0000000056A0: 69FBFA3C
	v_add_u32_e32 v254, s60, v254                              // 0000000056A4: 69FDFC3C
	v_add_u32_e32 v255, s60, v255                              // 0000000056A8: 69FFFE3C
	s_waitcnt lgkmcnt(0)                                       // 0000000056AC: BF8CC07F
	s_barrier                                                  // 0000000056B0: BF8A0000
	ds_read_b128 a[64:67], v23 offset:17408                    // 0000000056B4: DBFE4400 40000017
	ds_read_b128 a[68:71], v23 offset:17664                    // 0000000056BC: DBFE4500 44000017
	ds_read_b128 a[72:75], v23 offset:26112                    // 0000000056C4: DBFE6600 48000017
	ds_read_b128 a[76:79], v23 offset:26368                    // 0000000056CC: DBFE6700 4C000017
	ds_read_b128 a[16:19], v22                                 // 0000000056D4: DBFE0000 10000016
	ds_read_b128 a[20:23], v22 offset:512                      // 0000000056DC: DBFE0200 14000016
	ds_read_b128 a[24:27], v22 offset:2176                     // 0000000056E4: DBFE0880 18000016
	ds_read_b128 a[28:31], v22 offset:2688                     // 0000000056EC: DBFE0A80 1C000016
	s_waitcnt vmcnt(32) lgkmcnt(0)                             // 0000000056F4: BF8C8070
	s_barrier                                                  // 0000000056F8: BF8A0000
	s_cmp_lt_i32 2, s72                                        // 0000000056FC: BF044882
	s_cbranch_scc1 label_0651                                  // 000000005700: BF850010
	v_mov_b32_e32 v184, 0                                      // 000000005704: 7F700280
	v_mov_b32_e32 v185, 0                                      // 000000005708: 7F720280
	v_mov_b32_e32 v186, 0                                      // 00000000570C: 7F740280
	v_mov_b32_e32 v187, 0                                      // 000000005710: 7F760280
	v_mov_b32_e32 v188, 0                                      // 000000005714: 7F780280
	v_mov_b32_e32 v189, 0                                      // 000000005718: 7F7A0280
	v_mov_b32_e32 v190, 0                                      // 00000000571C: 7F7C0280
	v_mov_b32_e32 v191, 0                                      // 000000005720: 7F7E0280
	v_mov_b32_e32 v192, 0                                      // 000000005724: 7F800280
	v_mov_b32_e32 v193, 0                                      // 000000005728: 7F820280
	v_mov_b32_e32 v194, 0                                      // 00000000572C: 7F840280
	v_mov_b32_e32 v195, 0                                      // 000000005730: 7F860280
	v_mov_b32_e32 v196, 0                                      // 000000005734: 7F880280
	v_mov_b32_e32 v197, 0                                      // 000000005738: 7F8A0280
	v_mov_b32_e32 v198, 0                                      // 00000000573C: 7F8C0280
	v_mov_b32_e32 v199, 0                                      // 000000005740: 7F8E0280

0000000000005744 <label_0651>:
	v_perm_b32 v200, v185, v184, s63                           // 000000005744: D1ED00C8 00FF71B9
	v_perm_b32 v201, v185, v184, s64                           // 00000000574C: D1ED00C9 010371B9
	v_perm_b32 v202, v187, v186, s63                           // 000000005754: D1ED00CA 00FF75BB
	v_perm_b32 v203, v187, v186, s64                           // 00000000575C: D1ED00CB 010375BB
	v_perm_b32 v204, v189, v188, s63                           // 000000005764: D1ED00CC 00FF79BD
	v_perm_b32 v205, v189, v188, s64                           // 00000000576C: D1ED00CD 010379BD
	v_perm_b32 v206, v191, v190, s63                           // 000000005774: D1ED00CE 00FF7DBF
	v_perm_b32 v207, v191, v190, s64                           // 00000000577C: D1ED00CF 01037DBF
	v_perm_b32 v208, v193, v192, s63                           // 000000005784: D1ED00D0 00FF81C1
	v_perm_b32 v209, v193, v192, s64                           // 00000000578C: D1ED00D1 010381C1
	v_perm_b32 v210, v195, v194, s63                           // 000000005794: D1ED00D2 00FF85C3
	v_perm_b32 v211, v195, v194, s64                           // 00000000579C: D1ED00D3 010385C3
	v_perm_b32 v212, v197, v196, s63                           // 0000000057A4: D1ED00D4 00FF89C5
	v_perm_b32 v213, v197, v196, s64                           // 0000000057AC: D1ED00D5 010389C5
	v_perm_b32 v214, v199, v198, s63                           // 0000000057B4: D1ED00D6 00FF8DC7
	v_perm_b32 v215, v199, v198, s64                           // 0000000057BC: D1ED00D7 01038DC7
	ds_write_b32 v13, v200 offset:17408                        // 0000000057C4: D81A4400 0000C80D
	ds_write_b32 v13, v201 offset:18464                        // 0000000057CC: D81A4820 0000C90D
	ds_write_b32 v13, v202 offset:17536                        // 0000000057D4: D81A4480 0000CA0D
	ds_write_b32 v13, v203 offset:18592                        // 0000000057DC: D81A48A0 0000CB0D
	ds_write_b32 v13, v204 offset:21760                        // 0000000057E4: D81A5500 0000CC0D
	ds_write_b32 v13, v205 offset:22816                        // 0000000057EC: D81A5920 0000CD0D
	ds_write_b32 v13, v206 offset:21888                        // 0000000057F4: D81A5580 0000CE0D
	ds_write_b32 v13, v207 offset:22944                        // 0000000057FC: D81A59A0 0000CF0D
	ds_write_b32 v13, v208 offset:26112                        // 000000005804: D81A6600 0000D00D
	ds_write_b32 v13, v209 offset:27168                        // 00000000580C: D81A6A20 0000D10D
	ds_write_b32 v13, v210 offset:26240                        // 000000005814: D81A6680 0000D20D
	ds_write_b32 v13, v211 offset:27296                        // 00000000581C: D81A6AA0 0000D30D
	ds_write_b32 v13, v212 offset:30464                        // 000000005824: D81A7700 0000D40D
	ds_write_b32 v13, v213 offset:31520                        // 00000000582C: D81A7B20 0000D50D
	ds_write_b32 v13, v214 offset:30592                        // 000000005834: D81A7780 0000D60D
	ds_write_b32 v13, v215 offset:31648                        // 00000000583C: D81A7BA0 0000D70D
	ds_write_b32 v11, v184                                     // 000000005844: D81A0000 0000B80B
	ds_write_b32 v11, v185 offset:1056                         // 00000000584C: D81A0420 0000B90B
	ds_write_b32 v11, v186 offset:128                          // 000000005854: D81A0080 0000BA0B
	ds_write_b32 v11, v187 offset:1184                         // 00000000585C: D81A04A0 0000BB0B
	ds_write_b32 v11, v188 offset:4352                         // 000000005864: D81A1100 0000BC0B
	ds_write_b32 v11, v189 offset:5408                         // 00000000586C: D81A1520 0000BD0B
	ds_write_b32 v11, v190 offset:4480                         // 000000005874: D81A1180 0000BE0B
	ds_write_b32 v11, v191 offset:5536                         // 00000000587C: D81A15A0 0000BF0B
	ds_write_b32 v11, v192 offset:8704                         // 000000005884: D81A2200 0000C00B
	ds_write_b32 v11, v193 offset:9760                         // 00000000588C: D81A2620 0000C10B
	ds_write_b32 v11, v194 offset:8832                         // 000000005894: D81A2280 0000C20B
	ds_write_b32 v11, v195 offset:9888                         // 00000000589C: D81A26A0 0000C30B
	ds_write_b32 v11, v196 offset:13056                        // 0000000058A4: D81A3300 0000C40B
	ds_write_b32 v11, v197 offset:14112                        // 0000000058AC: D81A3720 0000C50B
	ds_write_b32 v11, v198 offset:13184                        // 0000000058B4: D81A3380 0000C60B
	ds_write_b32 v11, v199 offset:14240                        // 0000000058BC: D81A37A0 0000C70B
	v_mov_b32_e32 v184, 0                                      // 0000000058C4: 7F700280
	s_mov_b64 exec, s[90:91]                                   // 0000000058C8: BEFE015A
	buffer_load_dword v184, v252, s[16:19], 0 idxen            // 0000000058CC: E0502000 8004B8FC
	s_mov_b32 exec_lo, -1                                      // 0000000058D4: BEFE00C1
	s_mov_b32 exec_hi, -1                                      // 0000000058D8: BEFF00C1
	v_mov_b32_e32 v185, 0                                      // 0000000058DC: 7F720280
	s_mov_b64 exec, s[90:91]                                   // 0000000058E0: BEFE015A
	buffer_load_dword v185, v253, s[16:19], 0 idxen            // 0000000058E4: E0502000 8004B9FD
	s_mov_b32 exec_lo, -1                                      // 0000000058EC: BEFE00C1
	s_mov_b32 exec_hi, -1                                      // 0000000058F0: BEFF00C1
	v_mov_b32_e32 v186, 0                                      // 0000000058F4: 7F740280
	s_mov_b64 exec, s[90:91]                                   // 0000000058F8: BEFE015A
	buffer_load_dword v186, v254, s[16:19], 0 idxen            // 0000000058FC: E0502000 8004BAFE
	s_mov_b32 exec_lo, -1                                      // 000000005904: BEFE00C1
	s_mov_b32 exec_hi, -1                                      // 000000005908: BEFF00C1
	v_mov_b32_e32 v187, 0                                      // 00000000590C: 7F760280
	s_mov_b64 exec, s[90:91]                                   // 000000005910: BEFE015A
	buffer_load_dword v187, v255, s[16:19], 0 idxen            // 000000005914: E0502000 8004BBFF
	s_mov_b32 exec_lo, -1                                      // 00000000591C: BEFE00C1
	s_mov_b32 exec_hi, -1                                      // 000000005920: BEFF00C1
	s_mul_i32 s60, 4, s7                                       // 000000005924: 923C0784
	s_cmp_lt_i32 2, s72                                        // 000000005928: BF044882
	s_cselect_b32 s60, s60, 0                                  // 00000000592C: 853C803C
	v_add_u32_e32 v252, s60, v252                              // 000000005930: 69F9F83C
	v_add_u32_e32 v253, s60, v253                              // 000000005934: 69FBFA3C
	v_add_u32_e32 v254, s60, v254                              // 000000005938: 69FDFC3C
	v_add_u32_e32 v255, s60, v255                              // 00000000593C: 69FFFE3C
	v_mov_b32_e32 v188, 0                                      // 000000005940: 7F780280
	s_mov_b64 exec, s[90:91]                                   // 000000005944: BEFE015A
	buffer_load_dword v188, v252, s[16:19], 0 idxen            // 000000005948: E0502000 8004BCFC
	s_mov_b32 exec_lo, -1                                      // 000000005950: BEFE00C1
	s_mov_b32 exec_hi, -1                                      // 000000005954: BEFF00C1
	v_mov_b32_e32 v189, 0                                      // 000000005958: 7F7A0280
	s_mov_b64 exec, s[90:91]                                   // 00000000595C: BEFE015A
	buffer_load_dword v189, v253, s[16:19], 0 idxen            // 000000005960: E0502000 8004BDFD
	s_mov_b32 exec_lo, -1                                      // 000000005968: BEFE00C1
	s_mov_b32 exec_hi, -1                                      // 00000000596C: BEFF00C1
	v_mov_b32_e32 v190, 0                                      // 000000005970: 7F7C0280
	s_mov_b64 exec, s[90:91]                                   // 000000005974: BEFE015A
	buffer_load_dword v190, v254, s[16:19], 0 idxen            // 000000005978: E0502000 8004BEFE
	s_mov_b32 exec_lo, -1                                      // 000000005980: BEFE00C1
	s_mov_b32 exec_hi, -1                                      // 000000005984: BEFF00C1
	v_mov_b32_e32 v191, 0                                      // 000000005988: 7F7E0280
	s_mov_b64 exec, s[90:91]                                   // 00000000598C: BEFE015A
	buffer_load_dword v191, v255, s[16:19], 0 idxen            // 000000005990: E0502000 8004BFFF
	s_mov_b32 exec_lo, -1                                      // 000000005998: BEFE00C1
	s_mov_b32 exec_hi, -1                                      // 00000000599C: BEFF00C1
	s_mul_i32 s60, 4, s7                                       // 0000000059A0: 923C0784
	s_cmp_lt_i32 2, s72                                        // 0000000059A4: BF044882
	s_cselect_b32 s60, s60, 0                                  // 0000000059A8: 853C803C
	v_add_u32_e32 v252, s60, v252                              // 0000000059AC: 69F9F83C
	v_add_u32_e32 v253, s60, v253                              // 0000000059B0: 69FBFA3C
	v_add_u32_e32 v254, s60, v254                              // 0000000059B4: 69FDFC3C
	v_add_u32_e32 v255, s60, v255                              // 0000000059B8: 69FFFE3C
	v_mov_b32_e32 v192, 0                                      // 0000000059BC: 7F800280
	s_mov_b64 exec, s[90:91]                                   // 0000000059C0: BEFE015A
	buffer_load_dword v192, v252, s[16:19], 0 idxen            // 0000000059C4: E0502000 8004C0FC
	s_mov_b32 exec_lo, -1                                      // 0000000059CC: BEFE00C1
	s_mov_b32 exec_hi, -1                                      // 0000000059D0: BEFF00C1
	v_mov_b32_e32 v193, 0                                      // 0000000059D4: 7F820280
	s_mov_b64 exec, s[90:91]                                   // 0000000059D8: BEFE015A
	buffer_load_dword v193, v253, s[16:19], 0 idxen            // 0000000059DC: E0502000 8004C1FD
	s_mov_b32 exec_lo, -1                                      // 0000000059E4: BEFE00C1
	s_mov_b32 exec_hi, -1                                      // 0000000059E8: BEFF00C1
	v_mov_b32_e32 v194, 0                                      // 0000000059EC: 7F840280
	s_mov_b64 exec, s[90:91]                                   // 0000000059F0: BEFE015A
	buffer_load_dword v194, v254, s[16:19], 0 idxen            // 0000000059F4: E0502000 8004C2FE
	s_mov_b32 exec_lo, -1                                      // 0000000059FC: BEFE00C1
	s_mov_b32 exec_hi, -1                                      // 000000005A00: BEFF00C1
	v_mov_b32_e32 v195, 0                                      // 000000005A04: 7F860280
	s_mov_b64 exec, s[90:91]                                   // 000000005A08: BEFE015A
	buffer_load_dword v195, v255, s[16:19], 0 idxen            // 000000005A0C: E0502000 8004C3FF
	s_mov_b32 exec_lo, -1                                      // 000000005A14: BEFE00C1
	s_mov_b32 exec_hi, -1                                      // 000000005A18: BEFF00C1
	s_mul_i32 s60, 4, s7                                       // 000000005A1C: 923C0784
	s_cmp_lt_i32 2, s72                                        // 000000005A20: BF044882
	s_cselect_b32 s60, s60, 0                                  // 000000005A24: 853C803C
	v_add_u32_e32 v252, s60, v252                              // 000000005A28: 69F9F83C
	v_add_u32_e32 v253, s60, v253                              // 000000005A2C: 69FBFA3C
	v_add_u32_e32 v254, s60, v254                              // 000000005A30: 69FDFC3C
	v_add_u32_e32 v255, s60, v255                              // 000000005A34: 69FFFE3C
	v_mov_b32_e32 v196, 0                                      // 000000005A38: 7F880280
	s_mov_b64 exec, s[90:91]                                   // 000000005A3C: BEFE015A
	buffer_load_dword v196, v252, s[16:19], 0 idxen            // 000000005A40: E0502000 8004C4FC
	s_mov_b32 exec_lo, -1                                      // 000000005A48: BEFE00C1
	s_mov_b32 exec_hi, -1                                      // 000000005A4C: BEFF00C1
	v_mov_b32_e32 v197, 0                                      // 000000005A50: 7F8A0280
	s_mov_b64 exec, s[90:91]                                   // 000000005A54: BEFE015A
	buffer_load_dword v197, v253, s[16:19], 0 idxen            // 000000005A58: E0502000 8004C5FD
	s_mov_b32 exec_lo, -1                                      // 000000005A60: BEFE00C1
	s_mov_b32 exec_hi, -1                                      // 000000005A64: BEFF00C1
	v_mov_b32_e32 v198, 0                                      // 000000005A68: 7F8C0280
	s_mov_b64 exec, s[90:91]                                   // 000000005A6C: BEFE015A
	buffer_load_dword v198, v254, s[16:19], 0 idxen            // 000000005A70: E0502000 8004C6FE
	s_mov_b32 exec_lo, -1                                      // 000000005A78: BEFE00C1
	s_mov_b32 exec_hi, -1                                      // 000000005A7C: BEFF00C1
	v_mov_b32_e32 v199, 0                                      // 000000005A80: 7F8E0280
	s_mov_b64 exec, s[90:91]                                   // 000000005A84: BEFE015A
	buffer_load_dword v199, v255, s[16:19], 0 idxen            // 000000005A88: E0502000 8004C7FF
	s_mov_b32 exec_lo, -1                                      // 000000005A90: BEFE00C1
	s_mov_b32 exec_hi, -1                                      // 000000005A94: BEFF00C1
	s_mul_i32 s60, 4, s7                                       // 000000005A98: 923C0784
	s_cmp_lt_i32 3, s72                                        // 000000005A9C: BF044883
	s_cselect_b32 s60, s60, 0                                  // 000000005AA0: 853C803C
	v_add_u32_e32 v252, s60, v252                              // 000000005AA4: 69F9F83C
	v_add_u32_e32 v253, s60, v253                              // 000000005AA8: 69FBFA3C
	v_add_u32_e32 v254, s60, v254                              // 000000005AAC: 69FDFC3C
	v_add_u32_e32 v255, s60, v255                              // 000000005AB0: 69FFFE3C
	s_waitcnt lgkmcnt(0)                                       // 000000005AB4: BF8CC07F
	s_barrier                                                  // 000000005AB8: BF8A0000
	ds_read_b128 a[80:83], v23 offset:17408                    // 000000005ABC: DBFE4400 50000017
	ds_read_b128 a[84:87], v23 offset:17664                    // 000000005AC4: DBFE4500 54000017
	ds_read_b128 a[88:91], v23 offset:26112                    // 000000005ACC: DBFE6600 58000017
	ds_read_b128 a[92:95], v23 offset:26368                    // 000000005AD4: DBFE6700 5C000017
	ds_read_b128 a[32:35], v22                                 // 000000005ADC: DBFE0000 20000016
	ds_read_b128 a[36:39], v22 offset:512                      // 000000005AE4: DBFE0200 24000016
	ds_read_b128 a[40:43], v22 offset:2176                     // 000000005AEC: DBFE0880 28000016
	ds_read_b128 a[44:47], v22 offset:2688                     // 000000005AF4: DBFE0A80 2C000016
	s_waitcnt vmcnt(32) lgkmcnt(0)                             // 000000005AFC: BF8C8070
	s_barrier                                                  // 000000005B00: BF8A0000
	s_cmp_lt_i32 0, s72                                        // 000000005B04: BF044880
	s_cbranch_scc1 label_0753                                  // 000000005B08: BF850010
	v_mov_b32_e32 v152, 0                                      // 000000005B0C: 7F300280
	v_mov_b32_e32 v153, 0                                      // 000000005B10: 7F320280
	v_mov_b32_e32 v154, 0                                      // 000000005B14: 7F340280
	v_mov_b32_e32 v155, 0                                      // 000000005B18: 7F360280
	v_mov_b32_e32 v156, 0                                      // 000000005B1C: 7F380280
	v_mov_b32_e32 v157, 0                                      // 000000005B20: 7F3A0280
	v_mov_b32_e32 v158, 0                                      // 000000005B24: 7F3C0280
	v_mov_b32_e32 v159, 0                                      // 000000005B28: 7F3E0280
	v_mov_b32_e32 v160, 0                                      // 000000005B2C: 7F400280
	v_mov_b32_e32 v161, 0                                      // 000000005B30: 7F420280
	v_mov_b32_e32 v162, 0                                      // 000000005B34: 7F440280
	v_mov_b32_e32 v163, 0                                      // 000000005B38: 7F460280
	v_mov_b32_e32 v164, 0                                      // 000000005B3C: 7F480280
	v_mov_b32_e32 v165, 0                                      // 000000005B40: 7F4A0280
	v_mov_b32_e32 v166, 0                                      // 000000005B44: 7F4C0280
	v_mov_b32_e32 v167, 0                                      // 000000005B48: 7F4E0280

0000000000005b4c <label_0753>:
	ds_write_b32 v11, v152                                     // 000000005B4C: D81A0000 0000980B
	ds_write_b32 v11, v153 offset:1056                         // 000000005B54: D81A0420 0000990B
	ds_write_b32 v11, v154 offset:128                          // 000000005B5C: D81A0080 00009A0B
	ds_write_b32 v11, v155 offset:1184                         // 000000005B64: D81A04A0 00009B0B
	ds_write_b32 v11, v156 offset:4352                         // 000000005B6C: D81A1100 00009C0B
	ds_write_b32 v11, v157 offset:5408                         // 000000005B74: D81A1520 00009D0B
	ds_write_b32 v11, v158 offset:4480                         // 000000005B7C: D81A1180 00009E0B
	ds_write_b32 v11, v159 offset:5536                         // 000000005B84: D81A15A0 00009F0B
	ds_write_b32 v11, v160 offset:8704                         // 000000005B8C: D81A2200 0000A00B
	ds_write_b32 v11, v161 offset:9760                         // 000000005B94: D81A2620 0000A10B
	ds_write_b32 v11, v162 offset:8832                         // 000000005B9C: D81A2280 0000A20B
	ds_write_b32 v11, v163 offset:9888                         // 000000005BA4: D81A26A0 0000A30B
	ds_write_b32 v11, v164 offset:13056                        // 000000005BAC: D81A3300 0000A40B
	ds_write_b32 v11, v165 offset:14112                        // 000000005BB4: D81A3720 0000A50B
	ds_write_b32 v11, v166 offset:13184                        // 000000005BBC: D81A3380 0000A60B
	ds_write_b32 v11, v167 offset:14240                        // 000000005BC4: D81A37A0 0000A70B
	s_mov_b32 s71, s5                                          // 000000005BCC: BEC70005
	v_lshrrev_b32_e32 v28, 4, v0                               // 000000005BD0: 20380084
	v_and_b32_e32 v29, 1, v28                                  // 000000005BD4: 263A3881
	v_lshlrev_b32_e32 v29, 1, v29                              // 000000005BD8: 243A3A81
	v_mul_i32_i24_e32 v29, s71, v29                            // 000000005BDC: 0C3A3A47
	v_and_b32_e32 v30, 2, v28                                  // 000000005BE0: 263C3882
	v_lshlrev_b32_e32 v30, 5, v30                              // 000000005BE4: 243C3C85
	v_add_u32_e32 v29, v30, v29                                // 000000005BE8: 683A3B1E
	v_and_b32_e32 v28, 15, v0                                  // 000000005BEC: 2638008F
	v_lshlrev_b32_e32 v28, 2, v28                              // 000000005BF0: 24383882
	v_add_u32_e32 v1, v28, v29                                 // 000000005BF4: 68023B1C
	s_and_b32 s60, 1, s46                                      // 000000005BF8: 863C2E81
	s_mul_i32 s60, s60, s71                                    // 000000005BFC: 923C473C
	s_mul_i32 s60, s60, 8                                      // 000000005C00: 923C883C
	s_lshr_b32 s61, s46, 1                                     // 000000005C04: 8F3D812E
	s_mul_i32 s61, s61, 0x80                                   // 000000005C08: 923DFF3D 00000080
	s_add_u32 s60, s60, s61                                    // 000000005C10: 803C3D3C
	v_add_u32_e32 v1, s60, v1                                  // 000000005C14: 6802023C
	v_add_u32_e32 v2, s71, v1                                  // 000000005C18: 68040247
	s_mul_i32 s60, 4, s71                                      // 000000005C1C: 923C4784
	v_add_u32_e32 v3, s60, v1                                  // 000000005C20: 6806023C
	v_add_u32_e32 v4, s60, v2                                  // 000000005C24: 6808043C
	s_mov_b32 s71, s51                                         // 000000005C28: BEC70033
	v_lshrrev_b32_e32 v28, 4, v0                               // 000000005C2C: 20380084
	v_and_b32_e32 v29, 1, v28                                  // 000000005C30: 263A3881
	v_lshlrev_b32_e32 v29, 1, v29                              // 000000005C34: 243A3A81
	v_mul_i32_i24_e32 v29, s71, v29                            // 000000005C38: 0C3A3A47
	v_and_b32_e32 v30, 2, v28                                  // 000000005C3C: 263C3882
	v_lshlrev_b32_e32 v30, 5, v30                              // 000000005C40: 243C3C85
	v_add_u32_e32 v29, v30, v29                                // 000000005C44: 683A3B1E
	v_and_b32_e32 v28, 15, v0                                  // 000000005C48: 2638008F
	v_lshlrev_b32_e32 v28, 2, v28                              // 000000005C4C: 24383882
	v_add_u32_e32 v252, v28, v29                               // 000000005C50: 69F83B1C
	s_and_b32 s60, 1, s46                                      // 000000005C54: 863C2E81
	s_mul_i32 s60, s60, s71                                    // 000000005C58: 923C473C
	s_mul_i32 s60, s60, 8                                      // 000000005C5C: 923C883C
	s_lshr_b32 s61, s46, 1                                     // 000000005C60: 8F3D812E
	s_mul_i32 s61, s61, 0x80                                   // 000000005C64: 923DFF3D 00000080
	s_add_u32 s60, s60, s61                                    // 000000005C6C: 803C3D3C
	v_add_u32_e32 v252, s60, v252                              // 000000005C70: 69F9F83C
	v_add_u32_e32 v253, s71, v252                              // 000000005C74: 69FBF847
	s_mul_i32 s60, 4, s71                                      // 000000005C78: 923C4784
	v_add_u32_e32 v254, s60, v252                              // 000000005C7C: 69FDF83C
	v_add_u32_e32 v255, s60, v253                              // 000000005C80: 69FFFA3C
	v_lshrrev_b32_e32 v1, 2, v1                                // 000000005C84: 20020282
	v_lshrrev_b32_e32 v2, 2, v2                                // 000000005C88: 20040482
	v_lshrrev_b32_e32 v3, 2, v3                                // 000000005C8C: 20060682
	v_lshrrev_b32_e32 v4, 2, v4                                // 000000005C90: 20080882
	v_lshrrev_b32_e32 v252, 2, v252                            // 000000005C94: 21F9F882
	v_lshrrev_b32_e32 v253, 2, v253                            // 000000005C98: 21FBFA82
	v_lshrrev_b32_e32 v254, 2, v254                            // 000000005C9C: 21FDFC82
	v_lshrrev_b32_e32 v255, 2, v255                            // 000000005CA0: 21FFFE82
	v_mov_b32_e32 v32, 0                                       // 000000005CA4: 7E400280
	s_mov_b64 exec, s[90:91]                                   // 000000005CA8: BEFE015A
	buffer_load_dword v32, v1, s[8:11], 0 idxen                // 000000005CAC: E0502000 80022001
	s_mov_b32 exec_lo, -1                                      // 000000005CB4: BEFE00C1
	s_mov_b32 exec_hi, -1                                      // 000000005CB8: BEFF00C1
	v_mov_b32_e32 v33, 0                                       // 000000005CBC: 7E420280
	s_mov_b64 exec, s[90:91]                                   // 000000005CC0: BEFE015A
	buffer_load_dword v33, v2, s[8:11], 0 idxen                // 000000005CC4: E0502000 80022102
	s_mov_b32 exec_lo, -1                                      // 000000005CCC: BEFE00C1
	s_mov_b32 exec_hi, -1                                      // 000000005CD0: BEFF00C1
	v_mov_b32_e32 v34, 0                                       // 000000005CD4: 7E440280
	s_mov_b64 exec, s[90:91]                                   // 000000005CD8: BEFE015A
	buffer_load_dword v34, v3, s[8:11], 0 idxen                // 000000005CDC: E0502000 80022203
	s_mov_b32 exec_lo, -1                                      // 000000005CE4: BEFE00C1
	s_mov_b32 exec_hi, -1                                      // 000000005CE8: BEFF00C1
	v_mov_b32_e32 v35, 0                                       // 000000005CEC: 7E460280
	s_mov_b64 exec, s[90:91]                                   // 000000005CF0: BEFE015A
	buffer_load_dword v35, v4, s[8:11], 0 idxen                // 000000005CF4: E0502000 80022304
	s_mov_b32 exec_lo, -1                                      // 000000005CFC: BEFE00C1
	s_mov_b32 exec_hi, -1                                      // 000000005D00: BEFF00C1
	v_mov_b32_e32 v40, 0                                       // 000000005D04: 7E500280
	s_mov_b64 exec, s[90:91]                                   // 000000005D08: BEFE015A
	buffer_load_dword v40, v252, s[20:23], 0 idxen             // 000000005D0C: E0502000 800528FC
	s_mov_b32 exec_lo, -1                                      // 000000005D14: BEFE00C1
	s_mov_b32 exec_hi, -1                                      // 000000005D18: BEFF00C1
	v_mov_b32_e32 v41, 0                                       // 000000005D1C: 7E520280
	s_mov_b64 exec, s[90:91]                                   // 000000005D20: BEFE015A
	buffer_load_dword v41, v253, s[20:23], 0 idxen             // 000000005D24: E0502000 800529FD
	s_mov_b32 exec_lo, -1                                      // 000000005D2C: BEFE00C1
	s_mov_b32 exec_hi, -1                                      // 000000005D30: BEFF00C1
	v_mov_b32_e32 v42, 0                                       // 000000005D34: 7E540280
	s_mov_b64 exec, s[90:91]                                   // 000000005D38: BEFE015A
	buffer_load_dword v42, v254, s[20:23], 0 idxen             // 000000005D3C: E0502000 80052AFE
	s_mov_b32 exec_lo, -1                                      // 000000005D44: BEFE00C1
	s_mov_b32 exec_hi, -1                                      // 000000005D48: BEFF00C1
	v_mov_b32_e32 v43, 0                                       // 000000005D4C: 7E560280
	s_mov_b64 exec, s[90:91]                                   // 000000005D50: BEFE015A
	buffer_load_dword v43, v255, s[20:23], 0 idxen             // 000000005D54: E0502000 80052BFF
	s_mov_b32 exec_lo, -1                                      // 000000005D5C: BEFE00C1
	s_mov_b32 exec_hi, -1                                      // 000000005D60: BEFF00C1
	s_waitcnt lgkmcnt(0)                                       // 000000005D64: BF8CC07F
	s_barrier                                                  // 000000005D68: BF8A0000
	ds_read_b128 a[96:99], v22                                 // 000000005D6C: DBFE0000 60000016
	ds_read_b128 a[100:103], v22 offset:512                    // 000000005D74: DBFE0200 64000016
	ds_read_b128 a[104:107], v22 offset:2176                   // 000000005D7C: DBFE0880 68000016
	ds_read_b128 a[108:111], v22 offset:2688                   // 000000005D84: DBFE0A80 6C000016
	v_add_u32_e32 v1, s68, v1                                  // 000000005D8C: 68020244
	v_add_u32_e32 v2, s68, v2                                  // 000000005D90: 68040444
	v_add_u32_e32 v3, s68, v3                                  // 000000005D94: 68060644
	v_add_u32_e32 v4, s68, v4                                  // 000000005D98: 68080844
	v_add_u32_e32 v252, s99, v252                              // 000000005D9C: 69F9F863
	v_add_u32_e32 v253, s99, v253                              // 000000005DA0: 69FBFA63
	v_add_u32_e32 v254, s99, v254                              // 000000005DA4: 69FDFC63
	v_add_u32_e32 v255, s99, v255                              // 000000005DA8: 69FFFE63
	s_waitcnt vmcnt(24) lgkmcnt(0)                             // 000000005DAC: BF8C4078
	s_barrier                                                  // 000000005DB0: BF8A0000
	s_cmp_lt_i32 1, s72                                        // 000000005DB4: BF044881
	s_cbranch_scc1 label_07FF                                  // 000000005DB8: BF850010
	v_mov_b32_e32 v168, 0                                      // 000000005DBC: 7F500280
	v_mov_b32_e32 v169, 0                                      // 000000005DC0: 7F520280
	v_mov_b32_e32 v170, 0                                      // 000000005DC4: 7F540280
	v_mov_b32_e32 v171, 0                                      // 000000005DC8: 7F560280
	v_mov_b32_e32 v172, 0                                      // 000000005DCC: 7F580280
	v_mov_b32_e32 v173, 0                                      // 000000005DD0: 7F5A0280
	v_mov_b32_e32 v174, 0                                      // 000000005DD4: 7F5C0280
	v_mov_b32_e32 v175, 0                                      // 000000005DD8: 7F5E0280
	v_mov_b32_e32 v176, 0                                      // 000000005DDC: 7F600280
	v_mov_b32_e32 v177, 0                                      // 000000005DE0: 7F620280
	v_mov_b32_e32 v178, 0                                      // 000000005DE4: 7F640280
	v_mov_b32_e32 v179, 0                                      // 000000005DE8: 7F660280
	v_mov_b32_e32 v180, 0                                      // 000000005DEC: 7F680280
	v_mov_b32_e32 v181, 0                                      // 000000005DF0: 7F6A0280
	v_mov_b32_e32 v182, 0                                      // 000000005DF4: 7F6C0280
	v_mov_b32_e32 v183, 0                                      // 000000005DF8: 7F6E0280

0000000000005dfc <label_07FF>:
	ds_write_b32 v11, v168                                     // 000000005DFC: D81A0000 0000A80B
	ds_write_b32 v11, v169 offset:1056                         // 000000005E04: D81A0420 0000A90B
	ds_write_b32 v11, v170 offset:128                          // 000000005E0C: D81A0080 0000AA0B
	ds_write_b32 v11, v171 offset:1184                         // 000000005E14: D81A04A0 0000AB0B
	ds_write_b32 v11, v172 offset:4352                         // 000000005E1C: D81A1100 0000AC0B
	ds_write_b32 v11, v173 offset:5408                         // 000000005E24: D81A1520 0000AD0B
	ds_write_b32 v11, v174 offset:4480                         // 000000005E2C: D81A1180 0000AE0B
	ds_write_b32 v11, v175 offset:5536                         // 000000005E34: D81A15A0 0000AF0B
	ds_write_b32 v11, v176 offset:8704                         // 000000005E3C: D81A2200 0000B00B
	ds_write_b32 v11, v177 offset:9760                         // 000000005E44: D81A2620 0000B10B
	ds_write_b32 v11, v178 offset:8832                         // 000000005E4C: D81A2280 0000B20B
	ds_write_b32 v11, v179 offset:9888                         // 000000005E54: D81A26A0 0000B30B
	ds_write_b32 v11, v180 offset:13056                        // 000000005E5C: D81A3300 0000B40B
	ds_write_b32 v11, v181 offset:14112                        // 000000005E64: D81A3720 0000B50B
	ds_write_b32 v11, v182 offset:13184                        // 000000005E6C: D81A3380 0000B60B
	ds_write_b32 v11, v183 offset:14240                        // 000000005E74: D81A37A0 0000B70B
	v_mov_b32_e32 v36, 0                                       // 000000005E7C: 7E480280
	s_mov_b64 exec, s[90:91]                                   // 000000005E80: BEFE015A
	buffer_load_dword v36, v1, s[8:11], 0 idxen                // 000000005E84: E0502000 80022401
	s_mov_b32 exec_lo, -1                                      // 000000005E8C: BEFE00C1
	s_mov_b32 exec_hi, -1                                      // 000000005E90: BEFF00C1
	v_mov_b32_e32 v37, 0                                       // 000000005E94: 7E4A0280
	s_mov_b64 exec, s[90:91]                                   // 000000005E98: BEFE015A
	buffer_load_dword v37, v2, s[8:11], 0 idxen                // 000000005E9C: E0502000 80022502
	s_mov_b32 exec_lo, -1                                      // 000000005EA4: BEFE00C1
	s_mov_b32 exec_hi, -1                                      // 000000005EA8: BEFF00C1
	v_mov_b32_e32 v38, 0                                       // 000000005EAC: 7E4C0280
	s_mov_b64 exec, s[90:91]                                   // 000000005EB0: BEFE015A
	buffer_load_dword v38, v3, s[8:11], 0 idxen                // 000000005EB4: E0502000 80022603
	s_mov_b32 exec_lo, -1                                      // 000000005EBC: BEFE00C1
	s_mov_b32 exec_hi, -1                                      // 000000005EC0: BEFF00C1
	v_mov_b32_e32 v39, 0                                       // 000000005EC4: 7E4E0280
	s_mov_b64 exec, s[90:91]                                   // 000000005EC8: BEFE015A
	buffer_load_dword v39, v4, s[8:11], 0 idxen                // 000000005ECC: E0502000 80022704
	s_mov_b32 exec_lo, -1                                      // 000000005ED4: BEFE00C1
	s_mov_b32 exec_hi, -1                                      // 000000005ED8: BEFF00C1
	v_mov_b32_e32 v44, 0                                       // 000000005EDC: 7E580280
	s_mov_b64 exec, s[90:91]                                   // 000000005EE0: BEFE015A
	buffer_load_dword v44, v252, s[20:23], 0 idxen             // 000000005EE4: E0502000 80052CFC
	s_mov_b32 exec_lo, -1                                      // 000000005EEC: BEFE00C1
	s_mov_b32 exec_hi, -1                                      // 000000005EF0: BEFF00C1
	v_mov_b32_e32 v45, 0                                       // 000000005EF4: 7E5A0280
	s_mov_b64 exec, s[90:91]                                   // 000000005EF8: BEFE015A
	buffer_load_dword v45, v253, s[20:23], 0 idxen             // 000000005EFC: E0502000 80052DFD
	s_mov_b32 exec_lo, -1                                      // 000000005F04: BEFE00C1
	s_mov_b32 exec_hi, -1                                      // 000000005F08: BEFF00C1
	v_mov_b32_e32 v46, 0                                       // 000000005F0C: 7E5C0280
	s_mov_b64 exec, s[90:91]                                   // 000000005F10: BEFE015A
	buffer_load_dword v46, v254, s[20:23], 0 idxen             // 000000005F14: E0502000 80052EFE
	s_mov_b32 exec_lo, -1                                      // 000000005F1C: BEFE00C1
	s_mov_b32 exec_hi, -1                                      // 000000005F20: BEFF00C1
	v_mov_b32_e32 v47, 0                                       // 000000005F24: 7E5E0280
	s_mov_b64 exec, s[90:91]                                   // 000000005F28: BEFE015A
	buffer_load_dword v47, v255, s[20:23], 0 idxen             // 000000005F2C: E0502000 80052FFF
	s_mov_b32 exec_lo, -1                                      // 000000005F34: BEFE00C1
	s_mov_b32 exec_hi, -1                                      // 000000005F38: BEFF00C1
	s_waitcnt lgkmcnt(0)                                       // 000000005F3C: BF8CC07F
	s_barrier                                                  // 000000005F40: BF8A0000
	ds_read_b128 a[112:115], v22                               // 000000005F44: DBFE0000 70000016
	ds_read_b128 a[116:119], v22 offset:512                    // 000000005F4C: DBFE0200 74000016
	ds_read_b128 a[120:123], v22 offset:2176                   // 000000005F54: DBFE0880 78000016
	ds_read_b128 a[124:127], v22 offset:2688                   // 000000005F5C: DBFE0A80 7C000016
	v_add_u32_e32 v1, s68, v1                                  // 000000005F64: 68020244
	v_add_u32_e32 v2, s68, v2                                  // 000000005F68: 68040444
	v_add_u32_e32 v3, s68, v3                                  // 000000005F6C: 68060644
	v_add_u32_e32 v4, s68, v4                                  // 000000005F70: 68080844
	v_add_u32_e32 v252, s99, v252                              // 000000005F74: 69F9F863
	v_add_u32_e32 v253, s99, v253                              // 000000005F78: 69FBFA63
	v_add_u32_e32 v254, s99, v254                              // 000000005F7C: 69FDFC63
	v_add_u32_e32 v255, s99, v255                              // 000000005F80: 69FFFE63
	s_waitcnt vmcnt(16) lgkmcnt(0)                             // 000000005F84: BF8C4070
	s_barrier                                                  // 000000005F88: BF8A0000
	s_cmp_lt_i32 2, s72                                        // 000000005F8C: BF044882
	s_cbranch_scc1 label_0875                                  // 000000005F90: BF850010
	v_mov_b32_e32 v184, 0                                      // 000000005F94: 7F700280
	v_mov_b32_e32 v185, 0                                      // 000000005F98: 7F720280
	v_mov_b32_e32 v186, 0                                      // 000000005F9C: 7F740280
	v_mov_b32_e32 v187, 0                                      // 000000005FA0: 7F760280
	v_mov_b32_e32 v188, 0                                      // 000000005FA4: 7F780280
	v_mov_b32_e32 v189, 0                                      // 000000005FA8: 7F7A0280
	v_mov_b32_e32 v190, 0                                      // 000000005FAC: 7F7C0280
	v_mov_b32_e32 v191, 0                                      // 000000005FB0: 7F7E0280
	v_mov_b32_e32 v192, 0                                      // 000000005FB4: 7F800280
	v_mov_b32_e32 v193, 0                                      // 000000005FB8: 7F820280
	v_mov_b32_e32 v194, 0                                      // 000000005FBC: 7F840280
	v_mov_b32_e32 v195, 0                                      // 000000005FC0: 7F860280
	v_mov_b32_e32 v196, 0                                      // 000000005FC4: 7F880280
	v_mov_b32_e32 v197, 0                                      // 000000005FC8: 7F8A0280
	v_mov_b32_e32 v198, 0                                      // 000000005FCC: 7F8C0280
	v_mov_b32_e32 v199, 0                                      // 000000005FD0: 7F8E0280

0000000000005fd4 <label_0875>:
	ds_write_b32 v11, v184                                     // 000000005FD4: D81A0000 0000B80B
	ds_write_b32 v11, v185 offset:1056                         // 000000005FDC: D81A0420 0000B90B
	ds_write_b32 v11, v186 offset:128                          // 000000005FE4: D81A0080 0000BA0B
	ds_write_b32 v11, v187 offset:1184                         // 000000005FEC: D81A04A0 0000BB0B
	ds_write_b32 v11, v188 offset:4352                         // 000000005FF4: D81A1100 0000BC0B
	ds_write_b32 v11, v189 offset:5408                         // 000000005FFC: D81A1520 0000BD0B
	ds_write_b32 v11, v190 offset:4480                         // 000000006004: D81A1180 0000BE0B
	ds_write_b32 v11, v191 offset:5536                         // 00000000600C: D81A15A0 0000BF0B
	ds_write_b32 v11, v192 offset:8704                         // 000000006014: D81A2200 0000C00B
	ds_write_b32 v11, v193 offset:9760                         // 00000000601C: D81A2620 0000C10B
	ds_write_b32 v11, v194 offset:8832                         // 000000006024: D81A2280 0000C20B
	ds_write_b32 v11, v195 offset:9888                         // 00000000602C: D81A26A0 0000C30B
	ds_write_b32 v11, v196 offset:13056                        // 000000006034: D81A3300 0000C40B
	ds_write_b32 v11, v197 offset:14112                        // 00000000603C: D81A3720 0000C50B
	ds_write_b32 v11, v198 offset:13184                        // 000000006044: D81A3380 0000C60B
	ds_write_b32 v11, v199 offset:14240                        // 00000000604C: D81A37A0 0000C70B
	s_waitcnt lgkmcnt(0)                                       // 000000006054: BF8CC07F
	s_barrier                                                  // 000000006058: BF8A0000
	ds_read_b128 a[128:131], v22                               // 00000000605C: DBFE0000 80000016
	ds_read_b128 a[132:135], v22 offset:512                    // 000000006064: DBFE0200 84000016
	ds_read_b128 a[136:139], v22 offset:2176                   // 00000000606C: DBFE0880 88000016
	ds_read_b128 a[140:143], v22 offset:2688                   // 000000006074: DBFE0A80 8C000016
	s_waitcnt vmcnt(8) lgkmcnt(0)                              // 00000000607C: BF8C0078
	s_barrier                                                  // 000000006080: BF8A0000
	buffer_load_dword v9, s[24:27], 0 idxen lds                // 000000006084: E0512000 80060009
	s_mov_b32 m0, s81                                          // 00000000608C: BEFC0051
	v_add_u32_e32 v9, s69, v9                                  // 000000006090: 68121245
	v_perm_b32 v84, v33, v32, s63                              // 000000006094: D1ED0054 00FE4121
	v_perm_b32 v85, v33, v32, s64                              // 00000000609C: D1ED0055 01024121
	v_perm_b32 v86, v35, v34, s63                              // 0000000060A4: D1ED0056 00FE4523
	v_perm_b32 v87, v35, v34, s64                              // 0000000060AC: D1ED0057 01024523
	ds_write_b32 v13, v84 offset:4352                          // 0000000060B4: D81A1100 0000540D
	ds_write_b32 v13, v85 offset:5408                          // 0000000060BC: D81A1520 0000550D
	ds_write_b32 v13, v86 offset:4480                          // 0000000060C4: D81A1180 0000560D
	ds_write_b32 v13, v87 offset:5536                          // 0000000060CC: D81A15A0 0000570D
	ds_write_b32 v11, v32                                      // 0000000060D4: D81A0000 0000200B
	ds_write_b32 v11, v33 offset:1056                          // 0000000060DC: D81A0420 0000210B
	ds_write_b32 v11, v34 offset:128                           // 0000000060E4: D81A0080 0000220B
	ds_write_b32 v11, v35 offset:1184                          // 0000000060EC: D81A04A0 0000230B
	buffer_load_dword v9, s[24:27], 0 idxen lds                // 0000000060F4: E0512000 80060009
	s_mov_b32 m0, s80                                          // 0000000060FC: BEFC0050
	v_add_u32_e32 v9, s69, v9                                  // 000000006100: 68121245
	v_perm_b32 v88, v41, v40, s63                              // 000000006104: D1ED0058 00FE5129
	v_perm_b32 v89, v41, v40, s64                              // 00000000610C: D1ED0059 01025129
	v_perm_b32 v90, v43, v42, s63                              // 000000006114: D1ED005A 00FE552B
	v_perm_b32 v91, v43, v42, s64                              // 00000000611C: D1ED005B 0102552B
	ds_write_b32 v13, v88 offset:13056                         // 000000006124: D81A3300 0000580D
	ds_write_b32 v13, v89 offset:14112                         // 00000000612C: D81A3720 0000590D
	ds_write_b32 v13, v90 offset:13184                         // 000000006134: D81A3380 00005A0D
	ds_write_b32 v13, v91 offset:14240                         // 00000000613C: D81A37A0 00005B0D
	ds_write_b32 v11, v40 offset:8704                          // 000000006144: D81A2200 0000280B
	ds_write_b32 v11, v41 offset:9760                          // 00000000614C: D81A2620 0000290B
	ds_write_b32 v11, v42 offset:8832                          // 000000006154: D81A2280 00002A0B
	ds_write_b32 v11, v43 offset:9888                          // 00000000615C: D81A26A0 00002B0B
	s_waitcnt vmcnt(1) lgkmcnt(0)                              // 000000006164: BF8C0071
	s_barrier                                                  // 000000006168: BF8A0000
	ds_read_b128 a[144:147], v10                               // 00000000616C: DBFE0000 9000000A
	ds_read_b128 a[148:151], v10 offset:512                    // 000000006174: DBFE0200 9400000A
	ds_read_b128 a[152:155], v10 offset:2176                   // 00000000617C: DBFE0880 9800000A
	ds_read_b128 a[156:159], v10 offset:2688                   // 000000006184: DBFE0A80 9C00000A
	ds_read_b128 v[92:95], v10 offset:8704                     // 00000000618C: D9FE2200 5C00000A
	ds_read_b128 v[96:99], v10 offset:9216                     // 000000006194: D9FE2400 6000000A
	ds_read_b128 v[100:103], v10 offset:10880                  // 00000000619C: D9FE2A80 6400000A
	ds_read_b128 v[104:107], v10 offset:11392                  // 0000000061A4: D9FE2C80 6800000A
	ds_read_b32 v124, v21 offset:50688                         // 0000000061AC: D86CC600 7C000015
	ds_read_b32 v150, v21 offset:50944                         // 0000000061B4: D86CC700 96000015
	v_accvgpr_write_b32 a160, 0                                // 0000000061BC: D3D940A0 18000080
	v_mov_b32_e32 v152, 0                                      // 0000000061C4: 7F300280
	v_accvgpr_write_b32 a161, 0                                // 0000000061C8: D3D940A1 18000080
	v_mov_b32_e32 v153, 0                                      // 0000000061D0: 7F320280
	v_accvgpr_write_b32 a162, 0                                // 0000000061D4: D3D940A2 18000080
	v_mov_b32_e32 v154, 0                                      // 0000000061DC: 7F340280
	v_accvgpr_write_b32 a163, 0                                // 0000000061E0: D3D940A3 18000080
	v_mov_b32_e32 v155, 0                                      // 0000000061E8: 7F360280
	v_accvgpr_write_b32 a164, 0                                // 0000000061EC: D3D940A4 18000080
	v_mov_b32_e32 v156, 0                                      // 0000000061F4: 7F380280
	v_accvgpr_write_b32 a165, 0                                // 0000000061F8: D3D940A5 18000080
	v_mov_b32_e32 v157, 0                                      // 000000006200: 7F3A0280
	v_accvgpr_write_b32 a166, 0                                // 000000006204: D3D940A6 18000080
	v_mov_b32_e32 v158, 0                                      // 00000000620C: 7F3C0280
	v_accvgpr_write_b32 a167, 0                                // 000000006210: D3D940A7 18000080
	v_mov_b32_e32 v159, 0                                      // 000000006218: 7F3E0280
	v_accvgpr_write_b32 a168, 0                                // 00000000621C: D3D940A8 18000080
	v_mov_b32_e32 v160, 0                                      // 000000006224: 7F400280
	v_accvgpr_write_b32 a169, 0                                // 000000006228: D3D940A9 18000080
	v_mov_b32_e32 v161, 0                                      // 000000006230: 7F420280
	v_accvgpr_write_b32 a170, 0                                // 000000006234: D3D940AA 18000080
	v_mov_b32_e32 v162, 0                                      // 00000000623C: 7F440280
	v_accvgpr_write_b32 a171, 0                                // 000000006240: D3D940AB 18000080
	v_mov_b32_e32 v163, 0                                      // 000000006248: 7F460280
	v_accvgpr_write_b32 a172, 0                                // 00000000624C: D3D940AC 18000080
	v_mov_b32_e32 v164, 0                                      // 000000006254: 7F480280
	v_accvgpr_write_b32 a173, 0                                // 000000006258: D3D940AD 18000080
	v_mov_b32_e32 v165, 0                                      // 000000006260: 7F4A0280
	v_accvgpr_write_b32 a174, 0                                // 000000006264: D3D940AE 18000080
	v_mov_b32_e32 v166, 0                                      // 00000000626C: 7F4C0280
	v_accvgpr_write_b32 a175, 0                                // 000000006270: D3D940AF 18000080
	v_mov_b32_e32 v167, 0                                      // 000000006278: 7F4E0280
	v_accvgpr_write_b32 a176, 0                                // 00000000627C: D3D940B0 18000080
	v_mov_b32_e32 v168, 0                                      // 000000006284: 7F500280
	v_accvgpr_write_b32 a177, 0                                // 000000006288: D3D940B1 18000080
	v_mov_b32_e32 v169, 0                                      // 000000006290: 7F520280
	v_accvgpr_write_b32 a178, 0                                // 000000006294: D3D940B2 18000080
	v_mov_b32_e32 v170, 0                                      // 00000000629C: 7F540280
	v_accvgpr_write_b32 a179, 0                                // 0000000062A0: D3D940B3 18000080
	v_mov_b32_e32 v171, 0                                      // 0000000062A8: 7F560280
	v_accvgpr_write_b32 a180, 0                                // 0000000062AC: D3D940B4 18000080
	v_mov_b32_e32 v172, 0                                      // 0000000062B4: 7F580280
	v_accvgpr_write_b32 a181, 0                                // 0000000062B8: D3D940B5 18000080
	v_mov_b32_e32 v173, 0                                      // 0000000062C0: 7F5A0280
	v_accvgpr_write_b32 a182, 0                                // 0000000062C4: D3D940B6 18000080
	v_mov_b32_e32 v174, 0                                      // 0000000062CC: 7F5C0280
	v_accvgpr_write_b32 a183, 0                                // 0000000062D0: D3D940B7 18000080
	v_mov_b32_e32 v175, 0                                      // 0000000062D8: 7F5E0280
	v_accvgpr_write_b32 a184, 0                                // 0000000062DC: D3D940B8 18000080
	v_mov_b32_e32 v176, 0                                      // 0000000062E4: 7F600280
	v_accvgpr_write_b32 a185, 0                                // 0000000062E8: D3D940B9 18000080
	v_mov_b32_e32 v177, 0                                      // 0000000062F0: 7F620280
	v_accvgpr_write_b32 a186, 0                                // 0000000062F4: D3D940BA 18000080
	v_mov_b32_e32 v178, 0                                      // 0000000062FC: 7F640280
	v_accvgpr_write_b32 a187, 0                                // 000000006300: D3D940BB 18000080
	v_mov_b32_e32 v179, 0                                      // 000000006308: 7F660280
	v_accvgpr_write_b32 a188, 0                                // 00000000630C: D3D940BC 18000080
	v_mov_b32_e32 v180, 0                                      // 000000006314: 7F680280
	v_accvgpr_write_b32 a189, 0                                // 000000006318: D3D940BD 18000080
	v_mov_b32_e32 v181, 0                                      // 000000006320: 7F6A0280
	v_accvgpr_write_b32 a190, 0                                // 000000006324: D3D940BE 18000080
	v_mov_b32_e32 v182, 0                                      // 00000000632C: 7F6C0280
	v_accvgpr_write_b32 a191, 0                                // 000000006330: D3D940BF 18000080
	v_mov_b32_e32 v183, 0                                      // 000000006338: 7F6E0280
	v_accvgpr_write_b32 a192, 0                                // 00000000633C: D3D940C0 18000080
	v_mov_b32_e32 v184, 0                                      // 000000006344: 7F700280
	v_accvgpr_write_b32 a193, 0                                // 000000006348: D3D940C1 18000080
	v_mov_b32_e32 v185, 0                                      // 000000006350: 7F720280
	v_accvgpr_write_b32 a194, 0                                // 000000006354: D3D940C2 18000080
	v_mov_b32_e32 v186, 0                                      // 00000000635C: 7F740280
	v_accvgpr_write_b32 a195, 0                                // 000000006360: D3D940C3 18000080
	v_mov_b32_e32 v187, 0                                      // 000000006368: 7F760280
	v_accvgpr_write_b32 a196, 0                                // 00000000636C: D3D940C4 18000080
	v_mov_b32_e32 v188, 0                                      // 000000006374: 7F780280
	v_accvgpr_write_b32 a197, 0                                // 000000006378: D3D940C5 18000080
	v_mov_b32_e32 v189, 0                                      // 000000006380: 7F7A0280
	v_accvgpr_write_b32 a198, 0                                // 000000006384: D3D940C6 18000080
	v_mov_b32_e32 v190, 0                                      // 00000000638C: 7F7C0280
	v_accvgpr_write_b32 a199, 0                                // 000000006390: D3D940C7 18000080
	v_mov_b32_e32 v191, 0                                      // 000000006398: 7F7E0280
	v_accvgpr_write_b32 a200, 0                                // 00000000639C: D3D940C8 18000080
	v_mov_b32_e32 v192, 0                                      // 0000000063A4: 7F800280
	v_accvgpr_write_b32 a201, 0                                // 0000000063A8: D3D940C9 18000080
	v_mov_b32_e32 v193, 0                                      // 0000000063B0: 7F820280
	v_accvgpr_write_b32 a202, 0                                // 0000000063B4: D3D940CA 18000080
	v_mov_b32_e32 v194, 0                                      // 0000000063BC: 7F840280
	v_accvgpr_write_b32 a203, 0                                // 0000000063C0: D3D940CB 18000080
	v_mov_b32_e32 v195, 0                                      // 0000000063C8: 7F860280
	v_accvgpr_write_b32 a204, 0                                // 0000000063CC: D3D940CC 18000080
	v_mov_b32_e32 v196, 0                                      // 0000000063D4: 7F880280
	v_accvgpr_write_b32 a205, 0                                // 0000000063D8: D3D940CD 18000080
	v_mov_b32_e32 v197, 0                                      // 0000000063E0: 7F8A0280
	v_accvgpr_write_b32 a206, 0                                // 0000000063E4: D3D940CE 18000080
	v_mov_b32_e32 v198, 0                                      // 0000000063EC: 7F8C0280
	v_accvgpr_write_b32 a207, 0                                // 0000000063F0: D3D940CF 18000080
	v_mov_b32_e32 v199, 0                                      // 0000000063F8: 7F8E0280
	v_accvgpr_write_b32 a208, 0                                // 0000000063FC: D3D940D0 18000080
	v_mov_b32_e32 v200, 0                                      // 000000006404: 7F900280
	v_accvgpr_write_b32 a209, 0                                // 000000006408: D3D940D1 18000080
	v_mov_b32_e32 v201, 0                                      // 000000006410: 7F920280
	v_accvgpr_write_b32 a210, 0                                // 000000006414: D3D940D2 18000080
	v_mov_b32_e32 v202, 0                                      // 00000000641C: 7F940280
	v_accvgpr_write_b32 a211, 0                                // 000000006420: D3D940D3 18000080
	v_mov_b32_e32 v203, 0                                      // 000000006428: 7F960280
	v_accvgpr_write_b32 a212, 0                                // 00000000642C: D3D940D4 18000080
	v_mov_b32_e32 v204, 0                                      // 000000006434: 7F980280
	v_accvgpr_write_b32 a213, 0                                // 000000006438: D3D940D5 18000080
	v_mov_b32_e32 v205, 0                                      // 000000006440: 7F9A0280
	v_accvgpr_write_b32 a214, 0                                // 000000006444: D3D940D6 18000080
	v_mov_b32_e32 v206, 0                                      // 00000000644C: 7F9C0280
	v_accvgpr_write_b32 a215, 0                                // 000000006450: D3D940D7 18000080
	v_mov_b32_e32 v207, 0                                      // 000000006458: 7F9E0280
	v_accvgpr_write_b32 a216, 0                                // 00000000645C: D3D940D8 18000080
	v_mov_b32_e32 v208, 0                                      // 000000006464: 7FA00280
	v_accvgpr_write_b32 a217, 0                                // 000000006468: D3D940D9 18000080
	v_mov_b32_e32 v209, 0                                      // 000000006470: 7FA20280
	v_accvgpr_write_b32 a218, 0                                // 000000006474: D3D940DA 18000080
	v_mov_b32_e32 v210, 0                                      // 00000000647C: 7FA40280
	v_accvgpr_write_b32 a219, 0                                // 000000006480: D3D940DB 18000080
	v_mov_b32_e32 v211, 0                                      // 000000006488: 7FA60280
	v_accvgpr_write_b32 a220, 0                                // 00000000648C: D3D940DC 18000080
	v_mov_b32_e32 v212, 0                                      // 000000006494: 7FA80280
	v_accvgpr_write_b32 a221, 0                                // 000000006498: D3D940DD 18000080
	v_mov_b32_e32 v213, 0                                      // 0000000064A0: 7FAA0280
	v_accvgpr_write_b32 a222, 0                                // 0000000064A4: D3D940DE 18000080
	v_mov_b32_e32 v214, 0                                      // 0000000064AC: 7FAC0280
	v_accvgpr_write_b32 a223, 0                                // 0000000064B0: D3D940DF 18000080
	v_mov_b32_e32 v215, 0                                      // 0000000064B8: 7FAE0280
	v_accvgpr_write_b32 a224, 0                                // 0000000064BC: D3D940E0 18000080
	v_mov_b32_e32 v216, 0                                      // 0000000064C4: 7FB00280
	v_accvgpr_write_b32 a225, 0                                // 0000000064C8: D3D940E1 18000080
	v_mov_b32_e32 v217, 0                                      // 0000000064D0: 7FB20280
	v_accvgpr_write_b32 a226, 0                                // 0000000064D4: D3D940E2 18000080
	v_mov_b32_e32 v218, 0                                      // 0000000064DC: 7FB40280
	v_accvgpr_write_b32 a227, 0                                // 0000000064E0: D3D940E3 18000080
	v_mov_b32_e32 v219, 0                                      // 0000000064E8: 7FB60280
	v_accvgpr_write_b32 a228, 0                                // 0000000064EC: D3D940E4 18000080
	v_mov_b32_e32 v220, 0                                      // 0000000064F4: 7FB80280
	v_accvgpr_write_b32 a229, 0                                // 0000000064F8: D3D940E5 18000080
	v_mov_b32_e32 v221, 0                                      // 000000006500: 7FBA0280
	v_accvgpr_write_b32 a230, 0                                // 000000006504: D3D940E6 18000080
	v_mov_b32_e32 v222, 0                                      // 00000000650C: 7FBC0280
	v_accvgpr_write_b32 a231, 0                                // 000000006510: D3D940E7 18000080
	v_mov_b32_e32 v223, 0                                      // 000000006518: 7FBE0280
	v_accvgpr_write_b32 a232, 0                                // 00000000651C: D3D940E8 18000080
	v_mov_b32_e32 v224, 0                                      // 000000006524: 7FC00280
	v_accvgpr_write_b32 a233, 0                                // 000000006528: D3D940E9 18000080
	v_mov_b32_e32 v225, 0                                      // 000000006530: 7FC20280
	v_accvgpr_write_b32 a234, 0                                // 000000006534: D3D940EA 18000080
	v_mov_b32_e32 v226, 0                                      // 00000000653C: 7FC40280
	v_accvgpr_write_b32 a235, 0                                // 000000006540: D3D940EB 18000080
	v_mov_b32_e32 v227, 0                                      // 000000006548: 7FC60280
	v_accvgpr_write_b32 a236, 0                                // 00000000654C: D3D940EC 18000080
	v_mov_b32_e32 v228, 0                                      // 000000006554: 7FC80280
	v_accvgpr_write_b32 a237, 0                                // 000000006558: D3D940ED 18000080
	v_mov_b32_e32 v229, 0                                      // 000000006560: 7FCA0280
	v_accvgpr_write_b32 a238, 0                                // 000000006564: D3D940EE 18000080
	v_mov_b32_e32 v230, 0                                      // 00000000656C: 7FCC0280
	v_accvgpr_write_b32 a239, 0                                // 000000006570: D3D940EF 18000080
	v_mov_b32_e32 v231, 0                                      // 000000006578: 7FCE0280
	v_accvgpr_write_b32 a240, 0                                // 00000000657C: D3D940F0 18000080
	v_mov_b32_e32 v232, 0                                      // 000000006584: 7FD00280
	v_accvgpr_write_b32 a241, 0                                // 000000006588: D3D940F1 18000080
	v_mov_b32_e32 v233, 0                                      // 000000006590: 7FD20280
	v_accvgpr_write_b32 a242, 0                                // 000000006594: D3D940F2 18000080
	v_mov_b32_e32 v234, 0                                      // 00000000659C: 7FD40280
	v_accvgpr_write_b32 a243, 0                                // 0000000065A0: D3D940F3 18000080
	v_mov_b32_e32 v235, 0                                      // 0000000065A8: 7FD60280
	v_accvgpr_write_b32 a244, 0                                // 0000000065AC: D3D940F4 18000080
	v_mov_b32_e32 v236, 0                                      // 0000000065B4: 7FD80280
	v_accvgpr_write_b32 a245, 0                                // 0000000065B8: D3D940F5 18000080
	v_mov_b32_e32 v237, 0                                      // 0000000065C0: 7FDA0280
	v_accvgpr_write_b32 a246, 0                                // 0000000065C4: D3D940F6 18000080
	v_mov_b32_e32 v238, 0                                      // 0000000065CC: 7FDC0280
	v_accvgpr_write_b32 a247, 0                                // 0000000065D0: D3D940F7 18000080
	v_mov_b32_e32 v239, 0                                      // 0000000065D8: 7FDE0280
	v_accvgpr_write_b32 a248, 0                                // 0000000065DC: D3D940F8 18000080
	v_mov_b32_e32 v240, 0                                      // 0000000065E4: 7FE00280
	v_accvgpr_write_b32 a249, 0                                // 0000000065E8: D3D940F9 18000080
	v_mov_b32_e32 v241, 0                                      // 0000000065F0: 7FE20280
	v_accvgpr_write_b32 a250, 0                                // 0000000065F4: D3D940FA 18000080
	v_mov_b32_e32 v242, 0                                      // 0000000065FC: 7FE40280
	v_accvgpr_write_b32 a251, 0                                // 000000006600: D3D940FB 18000080
	v_mov_b32_e32 v243, 0                                      // 000000006608: 7FE60280
	v_accvgpr_write_b32 a252, 0                                // 00000000660C: D3D940FC 18000080
	v_mov_b32_e32 v244, 0                                      // 000000006614: 7FE80280
	v_accvgpr_write_b32 a253, 0                                // 000000006618: D3D940FD 18000080
	v_mov_b32_e32 v245, 0                                      // 000000006620: 7FEA0280
	v_accvgpr_write_b32 a254, 0                                // 000000006624: D3D940FE 18000080
	v_mov_b32_e32 v246, 0                                      // 00000000662C: 7FEC0280
	v_accvgpr_write_b32 a255, 0                                // 000000006630: D3D940FF 18000080
	v_mov_b32_e32 v247, 0                                      // 000000006638: 7FEE0280
	v_mov_b32_e32 v136, 0                                      // 00000000663C: 7F100280
	v_mov_b32_e32 v137, 0                                      // 000000006640: 7F120280
	v_mov_b32_e32 v138, 0                                      // 000000006644: 7F140280
	v_mov_b32_e32 v139, 0                                      // 000000006648: 7F160280
	v_mov_b32_e32 v140, 0                                      // 00000000664C: 7F180280
	v_mov_b32_e32 v141, 0                                      // 000000006650: 7F1A0280
	v_mov_b32_e32 v142, 0                                      // 000000006654: 7F1C0280
	v_mov_b32_e32 v143, 0                                      // 000000006658: 7F1E0280
	v_mov_b32_e32 v128, 0                                      // 00000000665C: 7F000280
	v_mov_b32_e32 v129, 0                                      // 000000006660: 7F020280
	v_mov_b32_e32 v130, 0                                      // 000000006664: 7F040280
	v_mov_b32_e32 v131, 0                                      // 000000006668: 7F060280
	v_mov_b32_e32 v132, 0                                      // 00000000666C: 7F080280
	v_mov_b32_e32 v133, 0                                      // 000000006670: 7F0A0280
	v_mov_b32_e32 v134, 0                                      // 000000006674: 7F0C0280
	v_mov_b32_e32 v135, 0                                      // 000000006678: 7F0E0280
	s_waitcnt lgkmcnt(0)                                       // 00000000667C: BF8CC07F
	s_barrier                                                  // 000000006680: BF8A0000
	v_mov_b32_e32 v32, 0                                       // 000000006684: 7E400280
	s_mov_b64 exec, s[90:91]                                   // 000000006688: BEFE015A
	buffer_load_dword v32, v1, s[8:11], 0 idxen                // 00000000668C: E0502000 80022001
	s_mov_b32 exec_lo, -1                                      // 000000006694: BEFE00C1
	s_mov_b32 exec_hi, -1                                      // 000000006698: BEFF00C1
	v_mov_b32_e32 v33, 0                                       // 00000000669C: 7E420280
	s_mov_b64 exec, s[90:91]                                   // 0000000066A0: BEFE015A
	buffer_load_dword v33, v2, s[8:11], 0 idxen                // 0000000066A4: E0502000 80022102
	s_mov_b32 exec_lo, -1                                      // 0000000066AC: BEFE00C1
	s_mov_b32 exec_hi, -1                                      // 0000000066B0: BEFF00C1
	v_mov_b32_e32 v34, 0                                       // 0000000066B4: 7E440280
	s_mov_b64 exec, s[90:91]                                   // 0000000066B8: BEFE015A
	buffer_load_dword v34, v3, s[8:11], 0 idxen                // 0000000066BC: E0502000 80022203
	s_mov_b32 exec_lo, -1                                      // 0000000066C4: BEFE00C1
	s_mov_b32 exec_hi, -1                                      // 0000000066C8: BEFF00C1
	v_mov_b32_e32 v35, 0                                       // 0000000066CC: 7E460280
	s_mov_b64 exec, s[90:91]                                   // 0000000066D0: BEFE015A
	buffer_load_dword v35, v4, s[8:11], 0 idxen                // 0000000066D4: E0502000 80022304
	s_mov_b32 exec_lo, -1                                      // 0000000066DC: BEFE00C1
	s_mov_b32 exec_hi, -1                                      // 0000000066E0: BEFF00C1
	v_mov_b32_e32 v40, 0                                       // 0000000066E4: 7E500280
	s_mov_b64 exec, s[90:91]                                   // 0000000066E8: BEFE015A
	buffer_load_dword v40, v252, s[20:23], 0 idxen             // 0000000066EC: E0502000 800528FC
	s_mov_b32 exec_lo, -1                                      // 0000000066F4: BEFE00C1
	s_mov_b32 exec_hi, -1                                      // 0000000066F8: BEFF00C1
	v_mov_b32_e32 v41, 0                                       // 0000000066FC: 7E520280
	s_mov_b64 exec, s[90:91]                                   // 000000006700: BEFE015A
	buffer_load_dword v41, v253, s[20:23], 0 idxen             // 000000006704: E0502000 800529FD
	s_mov_b32 exec_lo, -1                                      // 00000000670C: BEFE00C1
	s_mov_b32 exec_hi, -1                                      // 000000006710: BEFF00C1
	v_mov_b32_e32 v42, 0                                       // 000000006714: 7E540280
	s_mov_b64 exec, s[90:91]                                   // 000000006718: BEFE015A
	buffer_load_dword v42, v254, s[20:23], 0 idxen             // 00000000671C: E0502000 80052AFE
	s_mov_b32 exec_lo, -1                                      // 000000006724: BEFE00C1
	s_mov_b32 exec_hi, -1                                      // 000000006728: BEFF00C1
	v_mov_b32_e32 v43, 0                                       // 00000000672C: 7E560280
	s_mov_b64 exec, s[90:91]                                   // 000000006730: BEFE015A
	buffer_load_dword v43, v255, s[20:23], 0 idxen             // 000000006734: E0502000 80052BFF
	s_mov_b32 exec_lo, -1                                      // 00000000673C: BEFE00C1
	s_mov_b32 exec_hi, -1                                      // 000000006740: BEFF00C1
	buffer_load_dword v9, s[24:27], 0 idxen lds                // 000000006744: E0512000 80060009
	s_mov_b32 m0, s81                                          // 00000000674C: BEFC0051
	v_add_u32_e32 v9, s69, v9                                  // 000000006750: 68121245
	v_add_u32_e32 v1, s68, v1                                  // 000000006754: 68020244
	;; [unrolled: 1-line block ×3, first 2 shown]
	v_add_u32_e32 v3, s68, v3                                  // 00000000675C: 68060644
	v_add_u32_e32 v4, s68, v4                                  // 000000006760: 68080844
	v_add_u32_e32 v252, s99, v252                              // 000000006764: 69F9F863
	v_add_u32_e32 v253, s99, v253                              // 000000006768: 69FBFA63
	v_add_u32_e32 v254, s99, v254                              // 00000000676C: 69FDFC63
	v_add_u32_e32 v255, s99, v255                              // 000000006770: 69FFFE63
	v_mul_f32_e32 v124, s48, v124                              // 000000006774: 0AF8F830
	v_perm_b32 v84, v37, v36, s63                              // 000000006778: D1ED0054 00FE4925
	v_perm_b32 v85, v37, v36, s64                              // 000000006780: D1ED0055 01024925
	v_perm_b32 v86, v39, v38, s63                              // 000000006788: D1ED0056 00FE4D27
	v_perm_b32 v87, v39, v38, s64                              // 000000006790: D1ED0057 01024D27
	v_perm_b32 v88, v45, v44, s63                              // 000000006798: D1ED0058 00FE592D
	v_perm_b32 v89, v45, v44, s64                              // 0000000067A0: D1ED0059 0102592D
	v_perm_b32 v90, v47, v46, s63                              // 0000000067A8: D1ED005A 00FE5D2F
	v_perm_b32 v91, v47, v46, s64                              // 0000000067B0: D1ED005B 01025D2F
	v_mov_b32_dpp v127, v124 quad_perm:[3,3,3,3] row_mask:0xf bank_mask:0xf// 0000000067B8: 7EFE02FA FF00FF7C
	v_mov_b32_dpp v126, v124 quad_perm:[2,2,2,2] row_mask:0xf bank_mask:0xf// 0000000067C0: 7EFC02FA FF00AA7C
	v_mov_b32_dpp v125, v124 quad_perm:[1,1,1,1] row_mask:0xf bank_mask:0xf// 0000000067C8: 7EFA02FA FF00557C
	v_mov_b32_dpp v124, v124 quad_perm:[0,0,0,0] row_mask:0xf bank_mask:0xf// 0000000067D0: 7EF802FA FF00007C
	s_waitcnt vmcnt(9)                                         // 0000000067D8: BF8C0F79
	s_barrier                                                  // 0000000067DC: BF8A0000
	s_cmp_lt_i32 s46, 2                                        // 0000000067E0: BF04822E
	s_cbranch_scc0 label_1188                                  // 0000000067E4: BF840704
	s_nop 0                                                    // 0000000067E8: BF800000
	s_nop 0                                                    // 0000000067EC: BF800000

00000000000067f0 <label_0A7C>:
	s_waitcnt lgkmcnt(0)                                       // 0000000067F0: BF8CC07F
	s_barrier                                                  // 0000000067F4: BF8A0000
	v_mfma_f32_16x16x16_bf16 v[48:51], a[144:145], a[0:1], 0   // 0000000067F8: D3E10030 1A020190
	ds_write_b32 v11, v44 offset:8704                          // 000000006800: D81A2200 00002C0B
	ds_write_b32 v11, v45 offset:9760                          // 000000006808: D81A2620 00002D0B
	v_mfma_f32_16x16x16_bf16 v[48:51], a[146:147], a[2:3], v[48:51]// 000000006810: D3E10030 1CC20592
	v_mul_f32_e32 v128, s47, v128                              // 000000006818: 0B01002F
	v_mul_f32_e32 v129, s47, v129                              // 00000000681C: 0B03022F
	v_mfma_f32_16x16x16_bf16 v[48:51], a[148:149], a[4:5], v[48:51]// 000000006820: D3E10030 1CC20994
	ds_write_b32 v11, v46 offset:8832                          // 000000006828: D81A2280 00002E0B
	ds_write_b32 v11, v47 offset:9888                          // 000000006830: D81A26A0 00002F0B
	v_mfma_f32_16x16x16_bf16 v[48:51], a[150:151], a[6:7], v[48:51]// 000000006838: D3E10030 1CC20D96
	v_mul_f32_e32 v130, s47, v130                              // 000000006840: 0B05042F
	v_mul_f32_e32 v131, s47, v131                              // 000000006844: 0B07062F
	v_mfma_f32_16x16x16_bf16 v[48:51], a[152:153], a[8:9], v[48:51]// 000000006848: D3E10030 1CC21198
	ds_write_b64 v20, v[128:129] offset:24320                  // 000000006850: D89A5F00 00008014
	v_mfma_f32_16x16x16_bf16 v[48:51], a[154:155], a[10:11], v[48:51]// 000000006858: D3E10030 1CC2159A
	v_mul_f32_e32 v132, s47, v132                              // 000000006860: 0B09082F
	v_mul_f32_e32 v133, s47, v133                              // 000000006864: 0B0B0A2F
	v_mfma_f32_16x16x16_bf16 v[48:51], a[156:157], a[12:13], v[48:51]// 000000006868: D3E10030 1CC2199C
	ds_write_b64 v20, v[130:131] offset:24832                  // 000000006870: D89A6100 00008214
	v_mfma_f32_16x16x16_bf16 v[48:51], a[158:159], a[14:15], v[48:51]// 000000006878: D3E10030 1CC21D9E
	v_mul_f32_e32 v134, s47, v134                              // 000000006880: 0B0D0C2F
	v_mul_f32_e32 v135, s47, v135                              // 000000006884: 0B0F0E2F
	v_mfma_f32_16x16x16_bf16 v[52:55], a[144:145], a[16:17], 0 // 000000006888: D3E10034 1A022190
	ds_write_b64 v20, v[132:133] offset:25344                  // 000000006890: D89A6300 00008414
	v_mfma_f32_16x16x16_bf16 v[52:55], a[146:147], a[18:19], v[52:55]// 000000006898: D3E10034 1CD22592
	buffer_atomic_add_f32 v140, v7, s[32:35], 0 offen offset:256// 0000000068A0: E1341100 80088C07
	v_mfma_f32_16x16x16_bf16 v[52:55], a[148:149], a[20:21], v[52:55]// 0000000068A8: D3E10034 1CD22994
	ds_write_b64 v20, v[134:135] offset:25856                  // 0000000068B0: D89A6500 00008614
	v_mfma_f32_16x16x16_bf16 v[52:55], a[150:151], a[22:23], v[52:55]// 0000000068B8: D3E10034 1CD22D96
	v_mfma_f32_16x16x16_bf16 v[52:55], a[152:153], a[24:25], v[52:55]// 0000000068C0: D3E10034 1CD23198
	ds_read_b128 v[108:111], v12 offset:13056                  // 0000000068C8: D9FE3300 6C00000C
	ds_write_b32 v11, v36                                      // 0000000068D0: D81A0000 0000240B
	v_mfma_f32_16x16x16_bf16 v[52:55], a[154:155], a[26:27], v[52:55]// 0000000068D8: D3E10034 1CD2359A
	buffer_atomic_add_f32 v141, v8, s[32:35], 0 offen offset:256// 0000000068E0: E1341100 80088D08
	v_mfma_f32_16x16x16_bf16 v[52:55], a[156:157], a[28:29], v[52:55]// 0000000068E8: D3E10034 1CD2399C
	v_mfma_f32_16x16x16_bf16 v[52:55], a[158:159], a[30:31], v[52:55]// 0000000068F0: D3E10034 1CD23D9E
	ds_read_b128 v[112:115], v12 offset:13568                  // 0000000068F8: D9FE3500 7000000C
	ds_write_b32 v11, v37 offset:1056                          // 000000006900: D81A0420 0000250B
	v_mfma_f32_16x16x16_bf16 v[56:59], a[144:145], a[32:33], 0 // 000000006908: D3E10038 1A024190
	buffer_atomic_add_f32 v142, v7, s[32:35], 0 offen offset:384// 000000006910: E1341180 80088E07
	v_mfma_f32_16x16x16_bf16 v[56:59], a[146:147], a[34:35], v[56:59]// 000000006918: D3E10038 1CE24592
	v_mfma_f32_16x16x16_bf16 v[56:59], a[148:149], a[36:37], v[56:59]// 000000006920: D3E10038 1CE24994
	ds_read_b128 v[116:119], v12 offset:15232                  // 000000006928: D9FE3B80 7400000C
	ds_write_b32 v11, v38 offset:128                           // 000000006930: D81A0080 0000260B
	v_mfma_f32_16x16x16_bf16 v[56:59], a[150:151], a[38:39], v[56:59]// 000000006938: D3E10038 1CE24D96
	v_mfma_f32_16x16x16_bf16 v[56:59], a[152:153], a[40:41], v[56:59]// 000000006940: D3E10038 1CE25198
	buffer_atomic_add_f32 v143, v8, s[32:35], 0 offen offset:384// 000000006948: E1341180 80088F08
	v_mfma_f32_16x16x16_bf16 v[56:59], a[154:155], a[42:43], v[56:59]// 000000006950: D3E10038 1CE2559A
	ds_read_b128 v[120:123], v12 offset:15744                  // 000000006958: D9FE3D80 7800000C
	ds_write_b32 v11, v39 offset:1184                          // 000000006960: D81A04A0 0000270B
	v_mfma_f32_16x16x16_bf16 v[56:59], a[156:157], a[44:45], v[56:59]// 000000006968: D3E10038 1CE2599C
	v_mfma_f32_16x16x16_bf16 v[56:59], a[158:159], a[46:47], v[56:59]// 000000006970: D3E10038 1CE25D9E
	s_cmp_eq_i32 s94, 0                                        // 000000006978: BF00805E
	s_cbranch_scc1 label_0B74                                  // 00000000697C: BF85008F
	s_cmp_lt_i32 s74, 12                                       // 000000006980: BF048C4A
	s_cbranch_scc0 label_0B1F                                  // 000000006984: BF84003D
	s_lshl_b32 s60, s74, 4                                     // 000000006988: 8E3C844A
	v_sub_i32 v28, v25, s60                                    // 00000000698C: D29D001C 00007919
	s_mov_b32 s61, 0                                           // 000000006994: BEBD0080
	v_add_i32 v29, v28, s61                                    // 000000006998: D29C001D 00007B1C
	v_cmp_gt_i32_e64 s[70:71], v29, 0                          // 0000000069A0: D0C40046 0001011D
	v_cmp_gt_i32_e64 s[96:97], v29, 1                          // 0000000069A8: D0C40060 0001031D
	v_cndmask_b32_e64 v48, v48, v151, s[70:71]                 // 0000000069B0: D1000030 011B2F30
	v_cndmask_b32_e64 v49, v49, v151, s[96:97]                 // 0000000069B8: D1000031 01832F31
	v_cmp_gt_i32_e64 s[70:71], v29, 2                          // 0000000069C0: D0C40046 0001051D
	v_cmp_gt_i32_e64 s[96:97], v29, 3                          // 0000000069C8: D0C40060 0001071D
	v_cndmask_b32_e64 v50, v50, v151, s[70:71]                 // 0000000069D0: D1000032 011B2F32
	v_cndmask_b32_e64 v51, v51, v151, s[96:97]                 // 0000000069D8: D1000033 01832F33
	s_mov_b32 s61, 64                                          // 0000000069E0: BEBD00C0
	v_add_i32 v29, v28, s61                                    // 0000000069E4: D29C001D 00007B1C
	v_cmp_gt_i32_e64 s[70:71], v29, 0                          // 0000000069EC: D0C40046 0001011D
	v_cmp_gt_i32_e64 s[96:97], v29, 1                          // 0000000069F4: D0C40060 0001031D
	v_cndmask_b32_e64 v52, v52, v151, s[70:71]                 // 0000000069FC: D1000034 011B2F34
	v_cndmask_b32_e64 v53, v53, v151, s[96:97]                 // 000000006A04: D1000035 01832F35
	v_cmp_gt_i32_e64 s[70:71], v29, 2                          // 000000006A0C: D0C40046 0001051D
	v_cmp_gt_i32_e64 s[96:97], v29, 3                          // 000000006A14: D0C40060 0001071D
	v_cndmask_b32_e64 v54, v54, v151, s[70:71]                 // 000000006A1C: D1000036 011B2F36
	v_cndmask_b32_e64 v55, v55, v151, s[96:97]                 // 000000006A24: D1000037 01832F37
	s_mov_b32 s61, 0x80                                        // 000000006A2C: BEBD00FF 00000080
	v_add_i32 v29, v28, s61                                    // 000000006A34: D29C001D 00007B1C
	v_cmp_gt_i32_e64 s[70:71], v29, 0                          // 000000006A3C: D0C40046 0001011D
	v_cmp_gt_i32_e64 s[96:97], v29, 1                          // 000000006A44: D0C40060 0001031D
	v_cndmask_b32_e64 v56, v56, v151, s[70:71]                 // 000000006A4C: D1000038 011B2F38
	v_cndmask_b32_e64 v57, v57, v151, s[96:97]                 // 000000006A54: D1000039 01832F39
	v_cmp_gt_i32_e64 s[70:71], v29, 2                          // 000000006A5C: D0C40046 0001051D
	v_cmp_gt_i32_e64 s[96:97], v29, 3                          // 000000006A64: D0C40060 0001071D
	v_cndmask_b32_e64 v58, v58, v151, s[70:71]                 // 000000006A6C: D100003A 011B2F3A
	v_cndmask_b32_e64 v59, v59, v151, s[96:97]                 // 000000006A74: D100003B 01832F3B

0000000000006a7c <label_0B1F>:
	s_cmp_lt_i32 s100, 0xc0                                    // 000000006A7C: BF04FF64 000000C0
	s_cbranch_scc0 label_0B74                                  // 000000006A84: BF84004D
	s_cmp_le_i32 s100, 64                                      // 000000006A88: BF05C064
	s_cbranch_scc1 label_0B2B                                  // 000000006A8C: BF850007
	s_cmp_le_i32 s100, 0x80                                    // 000000006A90: BF05FF64 00000080
	s_cbranch_scc1 label_0B43                                  // 000000006A98: BF850017
	s_cmp_lt_i32 s100, 0xc0                                    // 000000006A9C: BF04FF64 000000C0
	s_cbranch_scc1 label_0B5B                                  // 000000006AA4: BF85002C
	s_branch label_0B74                                        // 000000006AA8: BF820044

0000000000006aac <label_0B2B>:
	s_mov_b32 s60, 0                                           // 000000006AAC: BEBC0080
	v_and_b32_e32 v28, 15, v0                                  // 000000006AB0: 2638008F
	v_add_u32_e64 v28, v28, s60                                // 000000006AB4: D134001C 0000791C
	v_mul_i32_i24_e64 v29, s46, 16                             // 000000006ABC: D106001D 0001202E
	v_add_u32_e32 v28, v28, v29                                // 000000006AC4: 68383B1C
	v_cmp_lt_u32_e64 s[60:61], v28, s100                       // 000000006AC8: D0C9003C 0000C91C
	s_nop 1                                                    // 000000006AD0: BF800001
	v_cndmask_b32_e64 v48, v151, v48, s[60:61]                 // 000000006AD4: D1000030 00F26197
	v_cndmask_b32_e64 v49, v151, v49, s[60:61]                 // 000000006ADC: D1000031 00F26397
	v_cndmask_b32_e64 v50, v151, v50, s[60:61]                 // 000000006AE4: D1000032 00F26597
	v_cndmask_b32_e64 v51, v151, v51, s[60:61]                 // 000000006AEC: D1000033 00F26797
	s_branch label_0B56                                        // 000000006AF4: BF820013

0000000000006af8 <label_0B43>:
	s_mov_b32 s60, 64                                          // 000000006AF8: BEBC00C0
	v_and_b32_e32 v28, 15, v0                                  // 000000006AFC: 2638008F
	v_add_u32_e64 v28, v28, s60                                // 000000006B00: D134001C 0000791C
	v_mul_i32_i24_e64 v29, s46, 16                             // 000000006B08: D106001D 0001202E
	v_add_u32_e32 v28, v28, v29                                // 000000006B10: 68383B1C
	v_cmp_lt_u32_e64 s[60:61], v28, s100                       // 000000006B14: D0C9003C 0000C91C
	s_nop 1                                                    // 000000006B1C: BF800001
	v_cndmask_b32_e64 v52, v151, v52, s[60:61]                 // 000000006B20: D1000034 00F26997
	v_cndmask_b32_e64 v53, v151, v53, s[60:61]                 // 000000006B28: D1000035 00F26B97
	v_cndmask_b32_e64 v54, v151, v54, s[60:61]                 // 000000006B30: D1000036 00F26D97
	v_cndmask_b32_e64 v55, v151, v55, s[60:61]                 // 000000006B38: D1000037 00F26F97
	s_branch label_0B6F                                        // 000000006B40: BF820019

0000000000006b44 <label_0B56>:
	v_mov_b32_e32 v52, v151                                    // 000000006B44: 7E680397
	v_mov_b32_e32 v53, v151                                    // 000000006B48: 7E6A0397
	v_mov_b32_e32 v54, v151                                    // 000000006B4C: 7E6C0397
	v_mov_b32_e32 v55, v151                                    // 000000006B50: 7E6E0397
	s_branch label_0B6F                                        // 000000006B54: BF820014

0000000000006b58 <label_0B5B>:
	s_mov_b32 s60, 0x80                                        // 000000006B58: BEBC00FF 00000080
	v_and_b32_e32 v28, 15, v0                                  // 000000006B60: 2638008F
	v_add_u32_e64 v28, v28, s60                                // 000000006B64: D134001C 0000791C
	v_mul_i32_i24_e64 v29, s46, 16                             // 000000006B6C: D106001D 0001202E
	v_add_u32_e32 v28, v28, v29                                // 000000006B74: 68383B1C
	v_cmp_lt_u32_e64 s[60:61], v28, s100                       // 000000006B78: D0C9003C 0000C91C
	s_nop 1                                                    // 000000006B80: BF800001
	v_cndmask_b32_e64 v56, v151, v56, s[60:61]                 // 000000006B84: D1000038 00F27197
	v_cndmask_b32_e64 v57, v151, v57, s[60:61]                 // 000000006B8C: D1000039 00F27397
	v_cndmask_b32_e64 v58, v151, v58, s[60:61]                 // 000000006B94: D100003A 00F27597
	v_cndmask_b32_e64 v59, v151, v59, s[60:61]                 // 000000006B9C: D100003B 00F27797
	s_branch label_0B74                                        // 000000006BA4: BF820005

0000000000006ba8 <label_0B6F>:
	v_mov_b32_e32 v56, v151                                    // 000000006BA8: 7E700397
	v_mov_b32_e32 v57, v151                                    // 000000006BAC: 7E720397
	v_mov_b32_e32 v58, v151                                    // 000000006BB0: 7E740397
	v_mov_b32_e32 v59, v151                                    // 000000006BB4: 7E760397
	s_branch label_0B74                                        // 000000006BB8: BF820000

0000000000006bbc <label_0B74>:
	s_addk_i32 s74, 0x1                                        // 000000006BBC: B74A0001
	s_waitcnt lgkmcnt(8)                                       // 000000006BC0: BF8CC87F
	s_barrier                                                  // 000000006BC4: BF8A0000
	v_mfma_f32_16x16x16_bf16 v[72:75], v[92:93], a[96:97], 0   // 000000006BC8: D3E10048 1202C15C
	ds_read_b128 a[144:147], v12 offset:4352                   // 000000006BD0: DBFE1100 9000000C
	ds_read_b128 a[148:151], v12 offset:4864                   // 000000006BD8: DBFE1300 9400000C
	v_mfma_f32_16x16x16_bf16 v[72:75], v[94:95], a[98:99], v[72:75]// 000000006BE0: D3E10048 1522C55E
	v_fma_f32 v48, v48, s57, -v124                             // 000000006BE8: D1CB0030 85F07330
	v_fma_f32 v49, v49, s57, -v125                             // 000000006BF0: D1CB0031 85F47331
	v_fma_f32 v50, v50, s57, -v126                             // 000000006BF8: D1CB0032 85F87332
	v_mfma_f32_16x16x16_bf16 v[72:75], v[96:97], a[100:101], v[72:75]// 000000006C00: D3E10048 1522C960
	v_fma_f32 v51, v51, s57, -v127                             // 000000006C08: D1CB0033 85FC7333
	v_fma_f32 v52, v52, s57, -v124                             // 000000006C10: D1CB0034 85F07334
	v_fma_f32 v53, v53, s57, -v125                             // 000000006C18: D1CB0035 85F47335
	v_mfma_f32_16x16x16_bf16 v[72:75], v[98:99], a[102:103], v[72:75]// 000000006C20: D3E10048 1522CD62
	v_fma_f32 v54, v54, s57, -v126                             // 000000006C28: D1CB0036 85F87336
	v_fma_f32 v55, v55, s57, -v127                             // 000000006C30: D1CB0037 85FC7337
	v_fma_f32 v56, v56, s57, -v124                             // 000000006C38: D1CB0038 85F07338
	v_mfma_f32_16x16x16_bf16 v[72:75], v[100:101], a[104:105], v[72:75]// 000000006C40: D3E10048 1522D164
	ds_read_b128 a[152:155], v12 offset:6528                   // 000000006C48: DBFE1980 9800000C
	ds_read_b128 a[156:159], v12 offset:7040                   // 000000006C50: DBFE1B80 9C00000C
	v_mfma_f32_16x16x16_bf16 v[72:75], v[102:103], a[106:107], v[72:75]// 000000006C58: D3E10048 1522D566
	v_fma_f32 v57, v57, s57, -v125                             // 000000006C60: D1CB0039 85F47339
	v_fma_f32 v58, v58, s57, -v126                             // 000000006C68: D1CB003A 85F8733A
	v_fma_f32 v59, v59, s57, -v127                             // 000000006C70: D1CB003B 85FC733B
	v_mfma_f32_16x16x16_bf16 v[72:75], v[104:105], a[108:109], v[72:75]// 000000006C78: D3E10048 1522D968
	v_exp_f32_e32 v48, v48                                     // 000000006C80: 7E604130
	v_mfma_f32_16x16x16_bf16 v[72:75], v[106:107], a[110:111], v[72:75]// 000000006C84: D3E10048 1522DD6A
	v_exp_f32_e32 v49, v49                                     // 000000006C8C: 7E624131
	v_mfma_f32_16x16x16_bf16 v[76:79], v[92:93], a[112:113], 0 // 000000006C90: D3E1004C 1202E15C
	ds_read_b64 v[136:137], v19 offset:24320                   // 000000006C98: D8EC5F00 88000013
	ds_read_b64 v[138:139], v19 offset:26368                   // 000000006CA0: D8EC6700 8A000013
	v_mfma_f32_16x16x16_bf16 v[76:79], v[94:95], a[114:115], v[76:79]// 000000006CA8: D3E1004C 1532E55E
	v_exp_f32_e32 v50, v50                                     // 000000006CB0: 7E644132
	v_mfma_f32_16x16x16_bf16 v[76:79], v[96:97], a[116:117], v[76:79]// 000000006CB4: D3E1004C 1532E960
	ds_read_b64 v[140:141], v19 offset:28416                   // 000000006CBC: D8EC6F00 8C000013
	ds_read_b64 v[142:143], v19 offset:30464                   // 000000006CC4: D8EC7700 8E000013
	v_mfma_f32_16x16x16_bf16 v[76:79], v[98:99], a[118:119], v[76:79]// 000000006CCC: D3E1004C 1532ED62
	v_exp_f32_e32 v51, v51                                     // 000000006CD4: 7E664133
	v_mfma_f32_16x16x16_bf16 v[76:79], v[100:101], a[120:121], v[76:79]// 000000006CD8: D3E1004C 1532F164
	v_exp_f32_e32 v52, v52                                     // 000000006CE0: 7E684134
	v_mfma_f32_16x16x16_bf16 v[76:79], v[102:103], a[122:123], v[76:79]// 000000006CE4: D3E1004C 1532F566
	v_exp_f32_e32 v53, v53                                     // 000000006CEC: 7E6A4135
	v_mfma_f32_16x16x16_bf16 v[76:79], v[104:105], a[124:125], v[76:79]// 000000006CF0: D3E1004C 1532F968
	v_exp_f32_e32 v54, v54                                     // 000000006CF8: 7E6C4136
	v_mfma_f32_16x16x16_bf16 v[76:79], v[106:107], a[126:127], v[76:79]// 000000006CFC: D3E1004C 1532FD6A
	v_exp_f32_e32 v55, v55                                     // 000000006D04: 7E6E4137
	v_mfma_f32_16x16x16_bf16 v[80:83], v[92:93], a[128:129], 0 // 000000006D08: D3E10050 1203015C
	v_exp_f32_e32 v56, v56                                     // 000000006D10: 7E704138
	v_mfma_f32_16x16x16_bf16 v[80:83], v[94:95], a[130:131], v[80:83]// 000000006D14: D3E10050 1543055E
	v_exp_f32_e32 v57, v57                                     // 000000006D1C: 7E724139
	v_mfma_f32_16x16x16_bf16 v[80:83], v[96:97], a[132:133], v[80:83]// 000000006D20: D3E10050 15430960
	v_exp_f32_e32 v58, v58                                     // 000000006D28: 7E74413A
	v_mfma_f32_16x16x16_bf16 v[80:83], v[98:99], a[134:135], v[80:83]// 000000006D2C: D3E10050 15430D62
	v_exp_f32_e32 v59, v59                                     // 000000006D34: 7E76413B
	v_mfma_f32_16x16x16_bf16 v[80:83], v[100:101], a[136:137], v[80:83]// 000000006D38: D3E10050 15431164
	v_cmp_u_f32_e64 s[78:79], v48, v48                         // 000000006D40: D048004E 00026130
	v_add3_u32 v248, v48, v251, 1                              // 000000006D48: D1FF00F8 0207F730
	v_cndmask_b32_e64 v28, v248, v250, s[78:79]                // 000000006D50: D100001C 013BF5F8
	v_cmp_u_f32_e64 s[78:79], v49, v49                         // 000000006D58: D048004E 00026331
	v_add3_u32 v248, v49, v251, 1                              // 000000006D60: D1FF00F8 0207F731
	v_cndmask_b32_e64 v29, v248, v250, s[78:79]                // 000000006D68: D100001D 013BF5F8
	v_perm_b32 v144, v29, v28, s64                             // 000000006D70: D1ED0090 0102391D
	v_cmp_u_f32_e64 s[78:79], v50, v50                         // 000000006D78: D048004E 00026532
	v_add3_u32 v248, v50, v251, 1                              // 000000006D80: D1FF00F8 0207F732
	v_cndmask_b32_e64 v28, v248, v250, s[78:79]                // 000000006D88: D100001C 013BF5F8
	v_cmp_u_f32_e64 s[78:79], v51, v51                         // 000000006D90: D048004E 00026733
	v_add3_u32 v248, v51, v251, 1                              // 000000006D98: D1FF00F8 0207F733
	v_cndmask_b32_e64 v29, v248, v250, s[78:79]                // 000000006DA0: D100001D 013BF5F8
	v_perm_b32 v145, v29, v28, s64                             // 000000006DA8: D1ED0091 0102391D
	v_cmp_u_f32_e64 s[78:79], v52, v52                         // 000000006DB0: D048004E 00026934
	v_add3_u32 v248, v52, v251, 1                              // 000000006DB8: D1FF00F8 0207F734
	v_cndmask_b32_e64 v28, v248, v250, s[78:79]                // 000000006DC0: D100001C 013BF5F8
	v_cmp_u_f32_e64 s[78:79], v53, v53                         // 000000006DC8: D048004E 00026B35
	v_add3_u32 v248, v53, v251, 1                              // 000000006DD0: D1FF00F8 0207F735
	v_cndmask_b32_e64 v29, v248, v250, s[78:79]                // 000000006DD8: D100001D 013BF5F8
	v_perm_b32 v146, v29, v28, s64                             // 000000006DE0: D1ED0092 0102391D
	v_mfma_f32_16x16x16_bf16 v[80:83], v[102:103], a[138:139], v[80:83]// 000000006DE8: D3E10050 15431566
	v_cmp_u_f32_e64 s[78:79], v54, v54                         // 000000006DF0: D048004E 00026D36
	v_add3_u32 v248, v54, v251, 1                              // 000000006DF8: D1FF00F8 0207F736
	v_cndmask_b32_e64 v28, v248, v250, s[78:79]                // 000000006E00: D100001C 013BF5F8
	v_cmp_u_f32_e64 s[78:79], v55, v55                         // 000000006E08: D048004E 00026F37
	v_add3_u32 v248, v55, v251, 1                              // 000000006E10: D1FF00F8 0207F737
	v_cndmask_b32_e64 v29, v248, v250, s[78:79]                // 000000006E18: D100001D 013BF5F8
	v_perm_b32 v147, v29, v28, s64                             // 000000006E20: D1ED0093 0102391D
	v_cmp_u_f32_e64 s[78:79], v56, v56                         // 000000006E28: D048004E 00027138
	v_add3_u32 v248, v56, v251, 1                              // 000000006E30: D1FF00F8 0207F738
	v_cndmask_b32_e64 v28, v248, v250, s[78:79]                // 000000006E38: D100001C 013BF5F8
	v_cmp_u_f32_e64 s[78:79], v57, v57                         // 000000006E40: D048004E 00027339
	v_add3_u32 v248, v57, v251, 1                              // 000000006E48: D1FF00F8 0207F739
	v_cndmask_b32_e64 v29, v248, v250, s[78:79]                // 000000006E50: D100001D 013BF5F8
	v_perm_b32 v148, v29, v28, s64                             // 000000006E58: D1ED0094 0102391D
	v_cmp_u_f32_e64 s[78:79], v58, v58                         // 000000006E60: D048004E 0002753A
	v_add3_u32 v248, v58, v251, 1                              // 000000006E68: D1FF00F8 0207F73A
	v_cndmask_b32_e64 v28, v248, v250, s[78:79]                // 000000006E70: D100001C 013BF5F8
	v_cmp_u_f32_e64 s[78:79], v59, v59                         // 000000006E78: D048004E 0002773B
	v_add3_u32 v248, v59, v251, 1                              // 000000006E80: D1FF00F8 0207F73B
	v_cndmask_b32_e64 v29, v248, v250, s[78:79]                // 000000006E88: D100001D 013BF5F8
	v_perm_b32 v149, v29, v28, s64                             // 000000006E90: D1ED0095 0102391D
	v_mfma_f32_16x16x16_bf16 v[80:83], v[104:105], a[140:141], v[80:83]// 000000006E98: D3E10050 15431968
	v_add_u32_e32 v7, s66, v7                                  // 000000006EA0: 680E0E42
	v_add_u32_e32 v8, s66, v8                                  // 000000006EA4: 68101042
	v_mfma_f32_16x16x16_bf16 v[80:83], v[106:107], a[142:143], v[80:83]// 000000006EA8: D3E10050 15431D6A
	s_waitcnt lgkmcnt(0)                                       // 000000006EB0: BF8CC07F
	s_barrier                                                  // 000000006EB4: BF8A0000
	v_mfma_f32_16x16x16_bf16 v[152:155], v[108:109], v[144:145], v[152:155]// 000000006EB8: D3E10098 0663216C
	v_subrev_f32_dpp v72, v150, v72 quad_perm:[0,0,0,0] row_mask:0xf bank_mask:0xf// 000000006EC0: 069090FA FF000096
	v_subrev_f32_dpp v73, v150, v73 quad_perm:[1,1,1,1] row_mask:0xf bank_mask:0xf// 000000006EC8: 069292FA FF005596
	v_subrev_f32_dpp v74, v150, v74 quad_perm:[2,2,2,2] row_mask:0xf bank_mask:0xf// 000000006ED0: 069494FA FF00AA96
	v_mfma_f32_16x16x16_bf16 v[156:159], v[110:111], v[144:145], v[156:159]// 000000006ED8: D3E1009C 0673216E
	v_subrev_f32_dpp v75, v150, v75 quad_perm:[3,3,3,3] row_mask:0xf bank_mask:0xf// 000000006EE0: 069696FA FF00FF96
	v_subrev_f32_dpp v76, v150, v76 quad_perm:[0,0,0,0] row_mask:0xf bank_mask:0xf// 000000006EE8: 069898FA FF000096
	v_subrev_f32_dpp v77, v150, v77 quad_perm:[1,1,1,1] row_mask:0xf bank_mask:0xf// 000000006EF0: 069A9AFA FF005596
	v_mfma_f32_16x16x16_bf16 v[160:163], v[112:113], v[144:145], v[160:163]// 000000006EF8: D3E100A0 06832170
	v_mul_f32_e32 v72, v48, v72                                // 000000006F00: 0A909130
	v_mul_f32_e32 v73, v49, v73                                // 000000006F04: 0A929331
	v_mul_f32_e32 v74, v50, v74                                // 000000006F08: 0A949532
	v_mfma_f32_16x16x16_bf16 v[164:167], v[114:115], v[144:145], v[164:167]// 000000006F0C: D3E100A4 06932172
	v_mul_f32_e32 v75, v51, v75                                // 000000006F14: 0A969733
	v_mul_f32_e32 v76, v52, v76                                // 000000006F18: 0A989934
	v_mul_f32_e32 v77, v53, v77                                // 000000006F1C: 0A9A9B35
	v_mfma_f32_16x16x16_bf16 v[168:171], v[116:117], v[144:145], v[168:171]// 000000006F20: D3E100A8 06A32174
	v_cmp_u_f32_e64 s[78:79], v72, v72                         // 000000006F28: D048004E 00029148
	v_add3_u32 v248, v72, v251, 1                              // 000000006F30: D1FF00F8 0207F748
	v_cndmask_b32_e64 v28, v248, v250, s[78:79]                // 000000006F38: D100001C 013BF5F8
	v_cmp_u_f32_e64 s[78:79], v73, v73                         // 000000006F40: D048004E 00029349
	v_add3_u32 v248, v73, v251, 1                              // 000000006F48: D1FF00F8 0207F749
	v_cndmask_b32_e64 v29, v248, v250, s[78:79]                // 000000006F50: D100001D 013BF5F8
	v_perm_b32 v72, v29, v28, s64                              // 000000006F58: D1ED0048 0102391D
	v_cmp_u_f32_e64 s[78:79], v74, v74                         // 000000006F60: D048004E 0002954A
	v_add3_u32 v248, v74, v251, 1                              // 000000006F68: D1FF00F8 0207F74A
	v_cndmask_b32_e64 v28, v248, v250, s[78:79]                // 000000006F70: D100001C 013BF5F8
	v_cmp_u_f32_e64 s[78:79], v75, v75                         // 000000006F78: D048004E 0002974B
	v_add3_u32 v248, v75, v251, 1                              // 000000006F80: D1FF00F8 0207F74B
	v_cndmask_b32_e64 v29, v248, v250, s[78:79]                // 000000006F88: D100001D 013BF5F8
	v_perm_b32 v73, v29, v28, s64                              // 000000006F90: D1ED0049 0102391D
	v_cmp_u_f32_e64 s[78:79], v76, v76                         // 000000006F98: D048004E 0002994C
	v_add3_u32 v248, v76, v251, 1                              // 000000006FA0: D1FF00F8 0207F74C
	v_cndmask_b32_e64 v28, v248, v250, s[78:79]                // 000000006FA8: D100001C 013BF5F8
	v_cmp_u_f32_e64 s[78:79], v77, v77                         // 000000006FB0: D048004E 00029B4D
	v_add3_u32 v248, v77, v251, 1                              // 000000006FB8: D1FF00F8 0207F74D
	v_cndmask_b32_e64 v29, v248, v250, s[78:79]                // 000000006FC0: D100001D 013BF5F8
	v_perm_b32 v74, v29, v28, s64                              // 000000006FC8: D1ED004A 0102391D
	v_mfma_f32_16x16x16_bf16 v[172:175], v[118:119], v[144:145], v[172:175]// 000000006FD0: D3E100AC 06B32176
	v_mov_b32_dpp v16, v72 quad_perm:[1,0,3,2] row_mask:0xf bank_mask:0xf// 000000006FD8: 7E2002FA FF00B148
	v_perm_b32 v48, v16, v72, v15                              // 000000006FE0: D1ED0030 043E9110
	v_mov_b32_dpp v16, v73 quad_perm:[1,0,3,2] row_mask:0xf bank_mask:0xf// 000000006FE8: 7E2002FA FF00B149
	v_mfma_f32_16x16x16_bf16 v[176:179], v[120:121], v[144:145], v[176:179]// 000000006FF0: D3E100B0 06C32178
	v_perm_b32 v49, v16, v73, v15                              // 000000006FF8: D1ED0031 043E9310
	v_mov_b32_dpp v16, v74 quad_perm:[1,0,3,2] row_mask:0xf bank_mask:0xf// 000000007000: 7E2002FA FF00B14A
	v_perm_b32 v50, v16, v74, v15                              // 000000007008: D1ED0032 043E9510
	v_mfma_f32_16x16x16_bf16 v[180:183], v[122:123], v[144:145], v[180:183]// 000000007010: D3E100B4 06D3217A
	ds_write_b32 v18, v48 offset:17408                         // 000000007018: D81A4400 00003012
	v_mfma_f32_16x16x16_bf16 v[184:187], v[108:109], v[146:147], v[184:187]// 000000007020: D3E100B8 06E3256C
	v_subrev_f32_dpp v78, v150, v78 quad_perm:[2,2,2,2] row_mask:0xf bank_mask:0xf// 000000007028: 069C9CFA FF00AA96
	v_subrev_f32_dpp v79, v150, v79 quad_perm:[3,3,3,3] row_mask:0xf bank_mask:0xf// 000000007030: 069E9EFA FF00FF96
	v_subrev_f32_dpp v80, v150, v80 quad_perm:[0,0,0,0] row_mask:0xf bank_mask:0xf// 000000007038: 06A0A0FA FF000096
	v_mfma_f32_16x16x16_bf16 v[188:191], v[110:111], v[146:147], v[188:191]// 000000007040: D3E100BC 06F3256E
	ds_write_b32 v18, v49 offset:17952                         // 000000007048: D81A4620 00003112
	v_mfma_f32_16x16x16_bf16 v[192:195], v[112:113], v[146:147], v[192:195]// 000000007050: D3E100C0 07032570
	v_subrev_f32_dpp v81, v150, v81 quad_perm:[1,1,1,1] row_mask:0xf bank_mask:0xf// 000000007058: 06A2A2FA FF005596
	v_subrev_f32_dpp v82, v150, v82 quad_perm:[2,2,2,2] row_mask:0xf bank_mask:0xf// 000000007060: 06A4A4FA FF00AA96
	v_subrev_f32_dpp v83, v150, v83 quad_perm:[3,3,3,3] row_mask:0xf bank_mask:0xf// 000000007068: 06A6A6FA FF00FF96
	v_mfma_f32_16x16x16_bf16 v[196:199], v[114:115], v[146:147], v[196:199]// 000000007070: D3E100C4 07132572
	ds_write_b32 v18, v50 offset:19712                         // 000000007078: D81A4D00 00003212
	v_mfma_f32_16x16x16_bf16 v[200:203], v[116:117], v[146:147], v[200:203]// 000000007080: D3E100C8 07232574
	v_mul_f32_e32 v78, v54, v78                                // 000000007088: 0A9C9D36
	v_mul_f32_e32 v79, v55, v79                                // 00000000708C: 0A9E9F37
	v_mul_f32_e32 v80, v56, v80                                // 000000007090: 0AA0A138
	v_mfma_f32_16x16x16_bf16 v[204:207], v[118:119], v[146:147], v[204:207]// 000000007094: D3E100CC 07332576
	v_mul_f32_e32 v81, v57, v81                                // 00000000709C: 0AA2A339
	v_mul_f32_e32 v82, v58, v82                                // 0000000070A0: 0AA4A53A
	v_mul_f32_e32 v83, v59, v83                                // 0000000070A4: 0AA6A73B
	v_mfma_f32_16x16x16_bf16 v[208:211], v[120:121], v[146:147], v[208:211]// 0000000070A8: D3E100D0 07432578
	v_cmp_u_f32_e64 s[78:79], v78, v78                         // 0000000070B0: D048004E 00029D4E
	v_add3_u32 v248, v78, v251, 1                              // 0000000070B8: D1FF00F8 0207F74E
	v_cndmask_b32_e64 v28, v248, v250, s[78:79]                // 0000000070C0: D100001C 013BF5F8
	v_cmp_u_f32_e64 s[78:79], v79, v79                         // 0000000070C8: D048004E 00029F4F
	v_add3_u32 v248, v79, v251, 1                              // 0000000070D0: D1FF00F8 0207F74F
	v_cndmask_b32_e64 v29, v248, v250, s[78:79]                // 0000000070D8: D100001D 013BF5F8
	v_perm_b32 v75, v29, v28, s64                              // 0000000070E0: D1ED004B 0102391D
	v_cmp_u_f32_e64 s[78:79], v80, v80                         // 0000000070E8: D048004E 0002A150
	v_add3_u32 v248, v80, v251, 1                              // 0000000070F0: D1FF00F8 0207F750
	v_cndmask_b32_e64 v28, v248, v250, s[78:79]                // 0000000070F8: D100001C 013BF5F8
	v_cmp_u_f32_e64 s[78:79], v81, v81                         // 000000007100: D048004E 0002A351
	v_add3_u32 v248, v81, v251, 1                              // 000000007108: D1FF00F8 0207F751
	v_cndmask_b32_e64 v29, v248, v250, s[78:79]                // 000000007110: D100001D 013BF5F8
	v_perm_b32 v76, v29, v28, s64                              // 000000007118: D1ED004C 0102391D
	v_cmp_u_f32_e64 s[78:79], v82, v82                         // 000000007120: D048004E 0002A552
	v_add3_u32 v248, v82, v251, 1                              // 000000007128: D1FF00F8 0207F752
	v_cndmask_b32_e64 v28, v248, v250, s[78:79]                // 000000007130: D100001C 013BF5F8
	v_cmp_u_f32_e64 s[78:79], v83, v83                         // 000000007138: D048004E 0002A753
	v_add3_u32 v248, v83, v251, 1                              // 000000007140: D1FF00F8 0207F753
	v_cndmask_b32_e64 v29, v248, v250, s[78:79]                // 000000007148: D100001D 013BF5F8
	v_perm_b32 v77, v29, v28, s64                              // 000000007150: D1ED004D 0102391D
	v_mfma_f32_16x16x16_bf16 v[212:215], v[122:123], v[146:147], v[212:215]// 000000007158: D3E100D4 0753257A
	v_mov_b32_dpp v16, v75 quad_perm:[1,0,3,2] row_mask:0xf bank_mask:0xf// 000000007160: 7E2002FA FF00B14B
	v_perm_b32 v51, v16, v75, v15                              // 000000007168: D1ED0033 043E9710
	v_mov_b32_dpp v16, v76 quad_perm:[1,0,3,2] row_mask:0xf bank_mask:0xf// 000000007170: 7E2002FA FF00B14C
	v_mfma_f32_16x16x16_bf16 v[216:219], v[108:109], v[148:149], v[216:219]// 000000007178: D3E100D8 0763296C
	v_perm_b32 v52, v16, v76, v15                              // 000000007180: D1ED0034 043E9910
	v_mov_b32_dpp v16, v77 quad_perm:[1,0,3,2] row_mask:0xf bank_mask:0xf// 000000007188: 7E2002FA FF00B14D
	v_perm_b32 v53, v16, v77, v15                              // 000000007190: D1ED0035 043E9B10
	v_mfma_f32_16x16x16_bf16 v[220:223], v[110:111], v[148:149], v[220:223]// 000000007198: D3E100DC 0773296E
	ds_write_b32 v18, v51 offset:20256                         // 0000000071A0: D81A4F20 00003312
	v_mfma_f32_16x16x16_bf16 v[224:227], v[112:113], v[148:149], v[224:227]// 0000000071A8: D3E100E0 07832970
	v_mfma_f32_16x16x16_bf16 v[228:231], v[114:115], v[148:149], v[228:231]// 0000000071B0: D3E100E4 07932972
	ds_write_b32 v18, v52 offset:22016                         // 0000000071B8: D81A5600 00003412
	ds_write_b32 v18, v53 offset:22560                         // 0000000071C0: D81A5820 00003512
	v_mfma_f32_16x16x16_bf16 v[232:235], v[116:117], v[148:149], v[232:235]// 0000000071C8: D3E100E8 07A32974
	v_mfma_f32_16x16x16_bf16 v[236:239], v[118:119], v[148:149], v[236:239]// 0000000071D0: D3E100EC 07B32976
	ds_write_b32 v13, v84 offset:4352                          // 0000000071D8: D81A1100 0000540D
	ds_write_b32 v13, v85 offset:5408                          // 0000000071E0: D81A1520 0000550D
	v_mfma_f32_16x16x16_bf16 v[240:243], v[120:121], v[148:149], v[240:243]// 0000000071E8: D3E100F0 07C32978
	s_nop 0                                                    // 0000000071F0: BF800000
	s_nop 0                                                    // 0000000071F4: BF800000
	s_nop 0                                                    // 0000000071F8: BF800000
	v_mfma_f32_16x16x16_bf16 v[244:247], v[122:123], v[148:149], v[244:247]// 0000000071FC: D3E100F4 07D3297A
	ds_write_b32 v13, v86 offset:4480                          // 000000007204: D81A1180 0000560D
	ds_write_b32 v13, v87 offset:5536                          // 00000000720C: D81A15A0 0000570D
	s_barrier                                                  // 000000007214: BF8A0000
	v_mfma_f32_16x16x16_bf16 a[160:163], a[144:145], v[72:73], a[160:163]// 000000007218: D3E180A0 0E829190
	buffer_atomic_add_f32 v136, v7, s[32:35], 0 offen          // 000000007220: E1341000 80088807
	v_mfma_f32_16x16x16_bf16 a[164:167], a[146:147], v[72:73], a[164:167]// 000000007228: D3E180A4 0E929192
	ds_read_b32 v124, v21 offset:51200                         // 000000007230: D86CC800 7C000015
	ds_read_b32 v150, v21 offset:51456                         // 000000007238: D86CC900 96000015
	v_mfma_f32_16x16x16_bf16 a[168:171], a[148:149], v[72:73], a[168:171]// 000000007240: D3E180A8 0EA29194
	s_waitcnt lgkmcnt(6)                                       // 000000007248: BF8CC67F
	s_barrier                                                  // 00000000724C: BF8A0000
	v_mfma_f32_16x16x16_bf16 a[172:175], a[150:151], v[72:73], a[172:175]// 000000007250: D3E180AC 0EB29196
	ds_read_b128 v[48:51], v17 offset:17408                    // 000000007258: D9FE4400 30000011
	v_mfma_f32_16x16x16_bf16 a[176:179], a[152:153], v[72:73], a[176:179]// 000000007260: D3E180B0 0EC29198
	v_mfma_f32_16x16x16_bf16 a[180:183], a[154:155], v[72:73], a[180:183]// 000000007268: D3E180B4 0ED2919A
	ds_read_b128 v[52:55], v17 offset:18560                    // 000000007270: D9FE4880 34000011
	v_mfma_f32_16x16x16_bf16 a[184:187], a[156:157], v[72:73], a[184:187]// 000000007278: D3E180B8 0EE2919C
	buffer_atomic_add_f32 v137, v8, s[32:35], 0 offen          // 000000007280: E1341000 80088908
	v_mfma_f32_16x16x16_bf16 a[188:191], a[158:159], v[72:73], a[188:191]// 000000007288: D3E180BC 0EF2919E
	ds_read_b128 v[56:59], v17 offset:19712                    // 000000007290: D9FE4D00 38000011
	v_mfma_f32_16x16x16_bf16 a[192:195], a[144:145], v[74:75], a[192:195]// 000000007298: D3E180C0 0F029590
	v_mfma_f32_16x16x16_bf16 a[196:199], a[146:147], v[74:75], a[196:199]// 0000000072A0: D3E180C4 0F129592
	ds_read_b128 v[60:63], v17 offset:20864                    // 0000000072A8: D9FE5180 3C000011
	v_mfma_f32_16x16x16_bf16 a[200:203], a[148:149], v[74:75], a[200:203]// 0000000072B0: D3E180C8 0F229594
	v_mfma_f32_16x16x16_bf16 a[204:207], a[150:151], v[74:75], a[204:207]// 0000000072B8: D3E180CC 0F329596
	ds_read_b128 v[64:67], v17 offset:22016                    // 0000000072C0: D9FE5600 40000011
	v_mfma_f32_16x16x16_bf16 a[208:211], a[152:153], v[74:75], a[208:211]// 0000000072C8: D3E180D0 0F429598
	buffer_atomic_add_f32 v138, v7, s[32:35], 0 offen offset:128// 0000000072D0: E1341080 80088A07
	v_mfma_f32_16x16x16_bf16 a[212:215], a[154:155], v[74:75], a[212:215]// 0000000072D8: D3E180D4 0F52959A
	ds_read_b128 v[68:71], v17 offset:23168                    // 0000000072E0: D9FE5A80 44000011
	v_mfma_f32_16x16x16_bf16 a[216:219], a[156:157], v[74:75], a[216:219]// 0000000072E8: D3E180D8 0F62959C
	v_mfma_f32_16x16x16_bf16 a[220:223], a[158:159], v[74:75], a[220:223]// 0000000072F0: D3E180DC 0F72959E
	ds_write_b32 v13, v88 offset:13056                         // 0000000072F8: D81A3300 0000580D
	v_mfma_f32_16x16x16_bf16 a[224:227], a[144:145], v[76:77], a[224:227]// 000000007300: D3E180E0 0F829990
	v_mfma_f32_16x16x16_bf16 a[228:231], a[146:147], v[76:77], a[228:231]// 000000007308: D3E180E4 0F929992
	ds_write_b32 v13, v89 offset:14112                         // 000000007310: D81A3720 0000590D
	v_mfma_f32_16x16x16_bf16 a[232:235], a[148:149], v[76:77], a[232:235]// 000000007318: D3E180E8 0FA29994
	buffer_atomic_add_f32 v139, v8, s[32:35], 0 offen offset:128// 000000007320: E1341080 80088B08
	v_mfma_f32_16x16x16_bf16 a[236:239], a[150:151], v[76:77], a[236:239]// 000000007328: D3E180EC 0FB29996
	ds_write_b32 v13, v90 offset:13184                         // 000000007330: D81A3380 00005A0D
	v_mfma_f32_16x16x16_bf16 a[240:243], a[152:153], v[76:77], a[240:243]// 000000007338: D3E180F0 0FC29998
	v_mfma_f32_16x16x16_bf16 a[244:247], a[154:155], v[76:77], a[244:247]// 000000007340: D3E180F4 0FD2999A
	ds_write_b32 v13, v91 offset:14240                         // 000000007348: D81A37A0 00005B0D
	v_mfma_f32_16x16x16_bf16 a[248:251], a[156:157], v[76:77], a[248:251]// 000000007350: D3E180F8 0FE2999C
	v_mfma_f32_16x16x16_bf16 a[252:255], a[158:159], v[76:77], a[252:255]// 000000007358: D3E180FC 0FF2999E
	s_waitcnt vmcnt(8) lgkmcnt(4)                              // 000000007360: BF8C0478
	s_barrier                                                  // 000000007364: BF8A0000
	v_mfma_f32_16x16x16_bf16 v[128:131], v[48:49], a[48:49], 0 // 000000007368: D3E10080 12026130
	v_mul_f32_e32 v124, s48, v124                              // 000000007370: 0AF8F830
	s_nop 0                                                    // 000000007374: BF800000
	v_mfma_f32_16x16x16_bf16 v[128:131], v[50:51], a[52:53], v[128:131]// 000000007378: D3E10080 16026932
	ds_read_b128 a[144:147], v10                               // 000000007380: DBFE0000 9000000A
	v_mov_b32_e32 v36, 0                                       // 000000007388: 7E480280
	s_mov_b64 exec, s[90:91]                                   // 00000000738C: BEFE015A
	buffer_load_dword v36, v1, s[8:11], 0 idxen                // 000000007390: E0502000 80022401
	s_mov_b32 exec_lo, -1                                      // 000000007398: BEFE00C1
	s_mov_b32 exec_hi, -1                                      // 00000000739C: BEFF00C1
	v_mfma_f32_16x16x16_bf16 v[128:131], v[52:53], a[56:57], v[128:131]// 0000000073A0: D3E10080 16027134
	v_mfma_f32_16x16x16_bf16 v[128:131], v[54:55], a[60:61], v[128:131]// 0000000073A8: D3E10080 16027936
	ds_read_b128 a[148:151], v10 offset:512                    // 0000000073B0: DBFE0200 9400000A
	v_mov_b32_e32 v37, 0                                       // 0000000073B8: 7E4A0280
	s_mov_b64 exec, s[90:91]                                   // 0000000073BC: BEFE015A
	buffer_load_dword v37, v2, s[8:11], 0 idxen                // 0000000073C0: E0502000 80022502
	s_mov_b32 exec_lo, -1                                      // 0000000073C8: BEFE00C1
	s_mov_b32 exec_hi, -1                                      // 0000000073CC: BEFF00C1
	v_mfma_f32_16x16x16_bf16 v[128:131], v[56:57], a[64:65], v[128:131]// 0000000073D0: D3E10080 16028138
	v_perm_b32 v84, v33, v32, s63                              // 0000000073D8: D1ED0054 00FE4121
	v_perm_b32 v85, v33, v32, s64                              // 0000000073E0: D1ED0055 01024121
	v_mfma_f32_16x16x16_bf16 v[128:131], v[58:59], a[68:69], v[128:131]// 0000000073E8: D3E10080 1602893A
	ds_read_b128 a[152:155], v10 offset:2176                   // 0000000073F0: DBFE0880 9800000A
	v_mov_b32_e32 v38, 0                                       // 0000000073F8: 7E4C0280
	s_mov_b64 exec, s[90:91]                                   // 0000000073FC: BEFE015A
	buffer_load_dword v38, v3, s[8:11], 0 idxen                // 000000007400: E0502000 80022603
	s_mov_b32 exec_lo, -1                                      // 000000007408: BEFE00C1
	s_mov_b32 exec_hi, -1                                      // 00000000740C: BEFF00C1
	v_mfma_f32_16x16x16_bf16 v[128:131], v[60:61], a[72:73], v[128:131]// 000000007410: D3E10080 1602913C
	v_perm_b32 v86, v35, v34, s63                              // 000000007418: D1ED0056 00FE4523
	v_perm_b32 v87, v35, v34, s64                              // 000000007420: D1ED0057 01024523
	v_mfma_f32_16x16x16_bf16 v[128:131], v[62:63], a[76:77], v[128:131]// 000000007428: D3E10080 1602993E
	ds_read_b128 a[156:159], v10 offset:2688                   // 000000007430: DBFE0A80 9C00000A
	v_mov_b32_e32 v39, 0                                       // 000000007438: 7E4E0280
	s_mov_b64 exec, s[90:91]                                   // 00000000743C: BEFE015A
	buffer_load_dword v39, v4, s[8:11], 0 idxen                // 000000007440: E0502000 80022704
	s_mov_b32 exec_lo, -1                                      // 000000007448: BEFE00C1
	s_mov_b32 exec_hi, -1                                      // 00000000744C: BEFF00C1
	v_mfma_f32_16x16x16_bf16 v[128:131], v[64:65], a[80:81], v[128:131]// 000000007450: D3E10080 1602A140
	v_perm_b32 v88, v41, v40, s63                              // 000000007458: D1ED0058 00FE5129
	v_perm_b32 v89, v41, v40, s64                              // 000000007460: D1ED0059 01025129
	v_mfma_f32_16x16x16_bf16 v[128:131], v[66:67], a[84:85], v[128:131]// 000000007468: D3E10080 1602A942
	ds_read_b128 v[92:95], v10 offset:8704                     // 000000007470: D9FE2200 5C00000A
	v_mov_b32_e32 v44, 0                                       // 000000007478: 7E580280
	s_mov_b64 exec, s[90:91]                                   // 00000000747C: BEFE015A
	buffer_load_dword v44, v252, s[20:23], 0 idxen             // 000000007480: E0502000 80052CFC
	s_mov_b32 exec_lo, -1                                      // 000000007488: BEFE00C1
	s_mov_b32 exec_hi, -1                                      // 00000000748C: BEFF00C1
	v_mfma_f32_16x16x16_bf16 v[128:131], v[68:69], a[88:89], v[128:131]// 000000007490: D3E10080 1602B144
	v_perm_b32 v90, v43, v42, s63                              // 000000007498: D1ED005A 00FE552B
	v_perm_b32 v91, v43, v42, s64                              // 0000000074A0: D1ED005B 0102552B
	v_mfma_f32_16x16x16_bf16 v[128:131], v[70:71], a[92:93], v[128:131]// 0000000074A8: D3E10080 1602B946
	ds_read_b128 v[96:99], v10 offset:9216                     // 0000000074B0: D9FE2400 6000000A
	v_mov_b32_e32 v45, 0                                       // 0000000074B8: 7E5A0280
	s_mov_b64 exec, s[90:91]                                   // 0000000074BC: BEFE015A
	buffer_load_dword v45, v253, s[20:23], 0 idxen             // 0000000074C0: E0502000 80052DFD
	s_mov_b32 exec_lo, -1                                      // 0000000074C8: BEFE00C1
	s_mov_b32 exec_hi, -1                                      // 0000000074CC: BEFF00C1
	v_mfma_f32_16x16x16_bf16 v[132:135], v[48:49], a[50:51], 0 // 0000000074D0: D3E10084 12026530
	v_mov_b32_dpp v127, v124 quad_perm:[3,3,3,3] row_mask:0xf bank_mask:0xf// 0000000074D8: 7EFE02FA FF00FF7C
	v_mov_b32_dpp v126, v124 quad_perm:[2,2,2,2] row_mask:0xf bank_mask:0xf// 0000000074E0: 7EFC02FA FF00AA7C
	v_mfma_f32_16x16x16_bf16 v[132:135], v[50:51], a[54:55], v[132:135]// 0000000074E8: D3E10084 16126D32
	ds_read_b128 v[100:103], v10 offset:10880                  // 0000000074F0: D9FE2A80 6400000A
	v_mov_b32_e32 v46, 0                                       // 0000000074F8: 7E5C0280
	s_mov_b64 exec, s[90:91]                                   // 0000000074FC: BEFE015A
	buffer_load_dword v46, v254, s[20:23], 0 idxen             // 000000007500: E0502000 80052EFE
	s_mov_b32 exec_lo, -1                                      // 000000007508: BEFE00C1
	s_mov_b32 exec_hi, -1                                      // 00000000750C: BEFF00C1
	v_mfma_f32_16x16x16_bf16 v[132:135], v[52:53], a[58:59], v[132:135]// 000000007510: D3E10084 16127534
	v_mov_b32_dpp v125, v124 quad_perm:[1,1,1,1] row_mask:0xf bank_mask:0xf// 000000007518: 7EFA02FA FF00557C
	v_mov_b32_dpp v124, v124 quad_perm:[0,0,0,0] row_mask:0xf bank_mask:0xf// 000000007520: 7EF802FA FF00007C
	s_add_u32 s60, 64, s59                                     // 000000007528: 803C3BC0
	v_mfma_f32_16x16x16_bf16 v[132:135], v[54:55], a[62:63], v[132:135]// 00000000752C: D3E10084 16127D36
	ds_read_b128 v[104:107], v10 offset:11392                  // 000000007534: D9FE2C80 6800000A
	v_mov_b32_e32 v47, 0                                       // 00000000753C: 7E5E0280
	s_mov_b64 exec, s[90:91]                                   // 000000007540: BEFE015A
	buffer_load_dword v47, v255, s[20:23], 0 idxen             // 000000007544: E0502000 80052FFF
	s_mov_b32 exec_lo, -1                                      // 00000000754C: BEFE00C1
	s_mov_b32 exec_hi, -1                                      // 000000007550: BEFF00C1
	v_mfma_f32_16x16x16_bf16 v[132:135], v[56:57], a[66:67], v[132:135]// 000000007554: D3E10084 16128538
	s_cmp_lt_u32 s60, s58                                      // 00000000755C: BF0A3A3C
	s_cselect_b32 s68, s68, 0                                  // 000000007560: 85448044
	s_cselect_b32 s99, s99, 0                                  // 000000007564: 85638063
	;; [unrolled: 1-line block ×3, first 2 shown]
	v_mfma_f32_16x16x16_bf16 v[132:135], v[58:59], a[70:71], v[132:135]// 00000000756C: D3E10084 16128D3A
	buffer_load_dword v9, s[24:27], 0 idxen lds                // 000000007574: E0512000 80060009
	v_mfma_f32_16x16x16_bf16 v[132:135], v[60:61], a[74:75], v[132:135]// 00000000757C: D3E10084 1612953C
	v_add_u32_e32 v1, s68, v1                                  // 000000007584: 68020244
	v_add_u32_e32 v2, s68, v2                                  // 000000007588: 68040444
	v_add_u32_e32 v3, s68, v3                                  // 00000000758C: 68060644
	v_add_u32_e32 v4, s68, v4                                  // 000000007590: 68080844
	v_mfma_f32_16x16x16_bf16 v[132:135], v[62:63], a[78:79], v[132:135]// 000000007594: D3E10084 16129D3E
	v_add_u32_e32 v252, s99, v252                              // 00000000759C: 69F9F863
	v_add_u32_e32 v253, s99, v253                              // 0000000075A0: 69FBFA63
	v_add_u32_e32 v254, s99, v254                              // 0000000075A4: 69FDFC63
	v_add_u32_e32 v255, s99, v255                              // 0000000075A8: 69FFFE63
	v_mfma_f32_16x16x16_bf16 v[132:135], v[64:65], a[82:83], v[132:135]// 0000000075AC: D3E10084 1612A540
	s_mov_b32 m0, s80                                          // 0000000075B4: BEFC0050
	v_add_u32_e32 v9, s69, v9                                  // 0000000075B8: 68121245
	v_mfma_f32_16x16x16_bf16 v[132:135], v[66:67], a[86:87], v[132:135]// 0000000075BC: D3E10084 1612AD42
	s_cmp_ge_u32 s59, s73                                      // 0000000075C4: BF09493B
	s_cselect_b32 s66, s67, s66                                // 0000000075C8: 85424243
	v_mfma_f32_16x16x16_bf16 v[132:135], v[68:69], a[90:91], v[132:135]// 0000000075CC: D3E10084 1612B544
	s_addk_i32 s59, 0x10                                       // 0000000075D4: B73B0010
	s_nop 0                                                    // 0000000075D8: BF800000
	s_cmp_lt_i32 s59, s58                                      // 0000000075DC: BF043A3B
	v_mfma_f32_16x16x16_bf16 v[132:135], v[70:71], a[94:95], v[132:135]// 0000000075E0: D3E10084 1612BD46
	s_cbranch_scc0 label_1185                                  // 0000000075E8: BF840380
	s_waitcnt lgkmcnt(0)                                       // 0000000075EC: BF8CC07F
	s_barrier                                                  // 0000000075F0: BF8A0000
	v_mfma_f32_16x16x16_bf16 v[48:51], a[144:145], a[0:1], 0   // 0000000075F4: D3E10030 1A020190
	ds_write_b32 v11, v40 offset:8704                          // 0000000075FC: D81A2200 0000280B
	ds_write_b32 v11, v41 offset:9760                          // 000000007604: D81A2620 0000290B
	v_mfma_f32_16x16x16_bf16 v[48:51], a[146:147], a[2:3], v[48:51]// 00000000760C: D3E10030 1CC20592
	v_mul_f32_e32 v128, s47, v128                              // 000000007614: 0B01002F
	v_mul_f32_e32 v129, s47, v129                              // 000000007618: 0B03022F
	v_mfma_f32_16x16x16_bf16 v[48:51], a[148:149], a[4:5], v[48:51]// 00000000761C: D3E10030 1CC20994
	ds_write_b32 v11, v42 offset:8832                          // 000000007624: D81A2280 00002A0B
	ds_write_b32 v11, v43 offset:9888                          // 00000000762C: D81A26A0 00002B0B
	v_mfma_f32_16x16x16_bf16 v[48:51], a[150:151], a[6:7], v[48:51]// 000000007634: D3E10030 1CC20D96
	v_mul_f32_e32 v130, s47, v130                              // 00000000763C: 0B05042F
	v_mul_f32_e32 v131, s47, v131                              // 000000007640: 0B07062F
	v_mfma_f32_16x16x16_bf16 v[48:51], a[152:153], a[8:9], v[48:51]// 000000007644: D3E10030 1CC21198
	ds_write_b64 v20, v[128:129] offset:24320                  // 00000000764C: D89A5F00 00008014
	v_mfma_f32_16x16x16_bf16 v[48:51], a[154:155], a[10:11], v[48:51]// 000000007654: D3E10030 1CC2159A
	v_mul_f32_e32 v132, s47, v132                              // 00000000765C: 0B09082F
	v_mul_f32_e32 v133, s47, v133                              // 000000007660: 0B0B0A2F
	v_mfma_f32_16x16x16_bf16 v[48:51], a[156:157], a[12:13], v[48:51]// 000000007664: D3E10030 1CC2199C
	ds_write_b64 v20, v[130:131] offset:24832                  // 00000000766C: D89A6100 00008214
	v_mfma_f32_16x16x16_bf16 v[48:51], a[158:159], a[14:15], v[48:51]// 000000007674: D3E10030 1CC21D9E
	v_mul_f32_e32 v134, s47, v134                              // 00000000767C: 0B0D0C2F
	v_mul_f32_e32 v135, s47, v135                              // 000000007680: 0B0F0E2F
	v_mfma_f32_16x16x16_bf16 v[52:55], a[144:145], a[16:17], 0 // 000000007684: D3E10034 1A022190
	ds_write_b64 v20, v[132:133] offset:25344                  // 00000000768C: D89A6300 00008414
	v_mfma_f32_16x16x16_bf16 v[52:55], a[146:147], a[18:19], v[52:55]// 000000007694: D3E10034 1CD22592
	buffer_atomic_add_f32 v140, v7, s[32:35], 0 offen offset:256// 00000000769C: E1341100 80088C07
	v_mfma_f32_16x16x16_bf16 v[52:55], a[148:149], a[20:21], v[52:55]// 0000000076A4: D3E10034 1CD22994
	ds_write_b64 v20, v[134:135] offset:25856                  // 0000000076AC: D89A6500 00008614
	v_mfma_f32_16x16x16_bf16 v[52:55], a[150:151], a[22:23], v[52:55]// 0000000076B4: D3E10034 1CD22D96
	v_mfma_f32_16x16x16_bf16 v[52:55], a[152:153], a[24:25], v[52:55]// 0000000076BC: D3E10034 1CD23198
	ds_read_b128 v[108:111], v12 offset:13056                  // 0000000076C4: D9FE3300 6C00000C
	ds_write_b32 v11, v32                                      // 0000000076CC: D81A0000 0000200B
	v_mfma_f32_16x16x16_bf16 v[52:55], a[154:155], a[26:27], v[52:55]// 0000000076D4: D3E10034 1CD2359A
	buffer_atomic_add_f32 v141, v8, s[32:35], 0 offen offset:256// 0000000076DC: E1341100 80088D08
	v_mfma_f32_16x16x16_bf16 v[52:55], a[156:157], a[28:29], v[52:55]// 0000000076E4: D3E10034 1CD2399C
	v_mfma_f32_16x16x16_bf16 v[52:55], a[158:159], a[30:31], v[52:55]// 0000000076EC: D3E10034 1CD23D9E
	ds_read_b128 v[112:115], v12 offset:13568                  // 0000000076F4: D9FE3500 7000000C
	ds_write_b32 v11, v33 offset:1056                          // 0000000076FC: D81A0420 0000210B
	v_mfma_f32_16x16x16_bf16 v[56:59], a[144:145], a[32:33], 0 // 000000007704: D3E10038 1A024190
	buffer_atomic_add_f32 v142, v7, s[32:35], 0 offen offset:384// 00000000770C: E1341180 80088E07
	v_mfma_f32_16x16x16_bf16 v[56:59], a[146:147], a[34:35], v[56:59]// 000000007714: D3E10038 1CE24592
	v_mfma_f32_16x16x16_bf16 v[56:59], a[148:149], a[36:37], v[56:59]// 00000000771C: D3E10038 1CE24994
	ds_read_b128 v[116:119], v12 offset:15232                  // 000000007724: D9FE3B80 7400000C
	ds_write_b32 v11, v34 offset:128                           // 00000000772C: D81A0080 0000220B
	v_mfma_f32_16x16x16_bf16 v[56:59], a[150:151], a[38:39], v[56:59]// 000000007734: D3E10038 1CE24D96
	v_mfma_f32_16x16x16_bf16 v[56:59], a[152:153], a[40:41], v[56:59]// 00000000773C: D3E10038 1CE25198
	buffer_atomic_add_f32 v143, v8, s[32:35], 0 offen offset:384// 000000007744: E1341180 80088F08
	v_mfma_f32_16x16x16_bf16 v[56:59], a[154:155], a[42:43], v[56:59]// 00000000774C: D3E10038 1CE2559A
	ds_read_b128 v[120:123], v12 offset:15744                  // 000000007754: D9FE3D80 7800000C
	ds_write_b32 v11, v35 offset:1184                          // 00000000775C: D81A04A0 0000230B
	v_mfma_f32_16x16x16_bf16 v[56:59], a[156:157], a[44:45], v[56:59]// 000000007764: D3E10038 1CE2599C
	v_mfma_f32_16x16x16_bf16 v[56:59], a[158:159], a[46:47], v[56:59]// 00000000776C: D3E10038 1CE25D9E
	s_cmp_eq_i32 s94, 0                                        // 000000007774: BF00805E
	s_cbranch_scc1 label_0EF8                                  // 000000007778: BF85008F
	s_cmp_lt_i32 s74, 12                                       // 00000000777C: BF048C4A
	s_cbranch_scc0 label_0EA3                                  // 000000007780: BF84003D
	s_lshl_b32 s60, s74, 4                                     // 000000007784: 8E3C844A
	v_sub_i32 v28, v25, s60                                    // 000000007788: D29D001C 00007919
	s_mov_b32 s61, 0                                           // 000000007790: BEBD0080
	v_add_i32 v29, v28, s61                                    // 000000007794: D29C001D 00007B1C
	v_cmp_gt_i32_e64 s[70:71], v29, 0                          // 00000000779C: D0C40046 0001011D
	v_cmp_gt_i32_e64 s[96:97], v29, 1                          // 0000000077A4: D0C40060 0001031D
	v_cndmask_b32_e64 v48, v48, v151, s[70:71]                 // 0000000077AC: D1000030 011B2F30
	v_cndmask_b32_e64 v49, v49, v151, s[96:97]                 // 0000000077B4: D1000031 01832F31
	v_cmp_gt_i32_e64 s[70:71], v29, 2                          // 0000000077BC: D0C40046 0001051D
	v_cmp_gt_i32_e64 s[96:97], v29, 3                          // 0000000077C4: D0C40060 0001071D
	v_cndmask_b32_e64 v50, v50, v151, s[70:71]                 // 0000000077CC: D1000032 011B2F32
	v_cndmask_b32_e64 v51, v51, v151, s[96:97]                 // 0000000077D4: D1000033 01832F33
	s_mov_b32 s61, 64                                          // 0000000077DC: BEBD00C0
	v_add_i32 v29, v28, s61                                    // 0000000077E0: D29C001D 00007B1C
	v_cmp_gt_i32_e64 s[70:71], v29, 0                          // 0000000077E8: D0C40046 0001011D
	v_cmp_gt_i32_e64 s[96:97], v29, 1                          // 0000000077F0: D0C40060 0001031D
	v_cndmask_b32_e64 v52, v52, v151, s[70:71]                 // 0000000077F8: D1000034 011B2F34
	v_cndmask_b32_e64 v53, v53, v151, s[96:97]                 // 000000007800: D1000035 01832F35
	v_cmp_gt_i32_e64 s[70:71], v29, 2                          // 000000007808: D0C40046 0001051D
	v_cmp_gt_i32_e64 s[96:97], v29, 3                          // 000000007810: D0C40060 0001071D
	v_cndmask_b32_e64 v54, v54, v151, s[70:71]                 // 000000007818: D1000036 011B2F36
	v_cndmask_b32_e64 v55, v55, v151, s[96:97]                 // 000000007820: D1000037 01832F37
	s_mov_b32 s61, 0x80                                        // 000000007828: BEBD00FF 00000080
	v_add_i32 v29, v28, s61                                    // 000000007830: D29C001D 00007B1C
	v_cmp_gt_i32_e64 s[70:71], v29, 0                          // 000000007838: D0C40046 0001011D
	v_cmp_gt_i32_e64 s[96:97], v29, 1                          // 000000007840: D0C40060 0001031D
	v_cndmask_b32_e64 v56, v56, v151, s[70:71]                 // 000000007848: D1000038 011B2F38
	v_cndmask_b32_e64 v57, v57, v151, s[96:97]                 // 000000007850: D1000039 01832F39
	v_cmp_gt_i32_e64 s[70:71], v29, 2                          // 000000007858: D0C40046 0001051D
	v_cmp_gt_i32_e64 s[96:97], v29, 3                          // 000000007860: D0C40060 0001071D
	v_cndmask_b32_e64 v58, v58, v151, s[70:71]                 // 000000007868: D100003A 011B2F3A
	v_cndmask_b32_e64 v59, v59, v151, s[96:97]                 // 000000007870: D100003B 01832F3B

0000000000007878 <label_0EA3>:
	s_cmp_lt_i32 s100, 0xc0                                    // 000000007878: BF04FF64 000000C0
	s_cbranch_scc0 label_0EF8                                  // 000000007880: BF84004D
	s_cmp_le_i32 s100, 64                                      // 000000007884: BF05C064
	s_cbranch_scc1 label_0EAF                                  // 000000007888: BF850007
	s_cmp_le_i32 s100, 0x80                                    // 00000000788C: BF05FF64 00000080
	s_cbranch_scc1 label_0EC7                                  // 000000007894: BF850017
	s_cmp_lt_i32 s100, 0xc0                                    // 000000007898: BF04FF64 000000C0
	s_cbranch_scc1 label_0EDF                                  // 0000000078A0: BF85002C
	s_branch label_0EF8                                        // 0000000078A4: BF820044

00000000000078a8 <label_0EAF>:
	s_mov_b32 s60, 0                                           // 0000000078A8: BEBC0080
	v_and_b32_e32 v28, 15, v0                                  // 0000000078AC: 2638008F
	v_add_u32_e64 v28, v28, s60                                // 0000000078B0: D134001C 0000791C
	v_mul_i32_i24_e64 v29, s46, 16                             // 0000000078B8: D106001D 0001202E
	v_add_u32_e32 v28, v28, v29                                // 0000000078C0: 68383B1C
	v_cmp_lt_u32_e64 s[60:61], v28, s100                       // 0000000078C4: D0C9003C 0000C91C
	s_nop 1                                                    // 0000000078CC: BF800001
	v_cndmask_b32_e64 v48, v151, v48, s[60:61]                 // 0000000078D0: D1000030 00F26197
	v_cndmask_b32_e64 v49, v151, v49, s[60:61]                 // 0000000078D8: D1000031 00F26397
	v_cndmask_b32_e64 v50, v151, v50, s[60:61]                 // 0000000078E0: D1000032 00F26597
	v_cndmask_b32_e64 v51, v151, v51, s[60:61]                 // 0000000078E8: D1000033 00F26797
	s_branch label_0EDA                                        // 0000000078F0: BF820013

00000000000078f4 <label_0EC7>:
	s_mov_b32 s60, 64                                          // 0000000078F4: BEBC00C0
	v_and_b32_e32 v28, 15, v0                                  // 0000000078F8: 2638008F
	v_add_u32_e64 v28, v28, s60                                // 0000000078FC: D134001C 0000791C
	v_mul_i32_i24_e64 v29, s46, 16                             // 000000007904: D106001D 0001202E
	v_add_u32_e32 v28, v28, v29                                // 00000000790C: 68383B1C
	v_cmp_lt_u32_e64 s[60:61], v28, s100                       // 000000007910: D0C9003C 0000C91C
	s_nop 1                                                    // 000000007918: BF800001
	v_cndmask_b32_e64 v52, v151, v52, s[60:61]                 // 00000000791C: D1000034 00F26997
	v_cndmask_b32_e64 v53, v151, v53, s[60:61]                 // 000000007924: D1000035 00F26B97
	v_cndmask_b32_e64 v54, v151, v54, s[60:61]                 // 00000000792C: D1000036 00F26D97
	v_cndmask_b32_e64 v55, v151, v55, s[60:61]                 // 000000007934: D1000037 00F26F97
	s_branch label_0EF3                                        // 00000000793C: BF820019

0000000000007940 <label_0EDA>:
	v_mov_b32_e32 v52, v151                                    // 000000007940: 7E680397
	v_mov_b32_e32 v53, v151                                    // 000000007944: 7E6A0397
	v_mov_b32_e32 v54, v151                                    // 000000007948: 7E6C0397
	v_mov_b32_e32 v55, v151                                    // 00000000794C: 7E6E0397
	s_branch label_0EF3                                        // 000000007950: BF820014

0000000000007954 <label_0EDF>:
	s_mov_b32 s60, 0x80                                        // 000000007954: BEBC00FF 00000080
	v_and_b32_e32 v28, 15, v0                                  // 00000000795C: 2638008F
	v_add_u32_e64 v28, v28, s60                                // 000000007960: D134001C 0000791C
	v_mul_i32_i24_e64 v29, s46, 16                             // 000000007968: D106001D 0001202E
	v_add_u32_e32 v28, v28, v29                                // 000000007970: 68383B1C
	v_cmp_lt_u32_e64 s[60:61], v28, s100                       // 000000007974: D0C9003C 0000C91C
	s_nop 1                                                    // 00000000797C: BF800001
	v_cndmask_b32_e64 v56, v151, v56, s[60:61]                 // 000000007980: D1000038 00F27197
	v_cndmask_b32_e64 v57, v151, v57, s[60:61]                 // 000000007988: D1000039 00F27397
	v_cndmask_b32_e64 v58, v151, v58, s[60:61]                 // 000000007990: D100003A 00F27597
	v_cndmask_b32_e64 v59, v151, v59, s[60:61]                 // 000000007998: D100003B 00F27797
	s_branch label_0EF8                                        // 0000000079A0: BF820005

00000000000079a4 <label_0EF3>:
	v_mov_b32_e32 v56, v151                                    // 0000000079A4: 7E700397
	v_mov_b32_e32 v57, v151                                    // 0000000079A8: 7E720397
	v_mov_b32_e32 v58, v151                                    // 0000000079AC: 7E740397
	v_mov_b32_e32 v59, v151                                    // 0000000079B0: 7E760397
	s_branch label_0EF8                                        // 0000000079B4: BF820000

00000000000079b8 <label_0EF8>:
	s_addk_i32 s74, 0x1                                        // 0000000079B8: B74A0001
	s_waitcnt lgkmcnt(8)                                       // 0000000079BC: BF8CC87F
	s_barrier                                                  // 0000000079C0: BF8A0000
	v_mfma_f32_16x16x16_bf16 v[72:75], v[92:93], a[96:97], 0   // 0000000079C4: D3E10048 1202C15C
	ds_read_b128 a[144:147], v12 offset:4352                   // 0000000079CC: DBFE1100 9000000C
	ds_read_b128 a[148:151], v12 offset:4864                   // 0000000079D4: DBFE1300 9400000C
	v_mfma_f32_16x16x16_bf16 v[72:75], v[94:95], a[98:99], v[72:75]// 0000000079DC: D3E10048 1522C55E
	v_fma_f32 v48, v48, s57, -v124                             // 0000000079E4: D1CB0030 85F07330
	v_fma_f32 v49, v49, s57, -v125                             // 0000000079EC: D1CB0031 85F47331
	v_fma_f32 v50, v50, s57, -v126                             // 0000000079F4: D1CB0032 85F87332
	v_mfma_f32_16x16x16_bf16 v[72:75], v[96:97], a[100:101], v[72:75]// 0000000079FC: D3E10048 1522C960
	v_fma_f32 v51, v51, s57, -v127                             // 000000007A04: D1CB0033 85FC7333
	v_fma_f32 v52, v52, s57, -v124                             // 000000007A0C: D1CB0034 85F07334
	v_fma_f32 v53, v53, s57, -v125                             // 000000007A14: D1CB0035 85F47335
	v_mfma_f32_16x16x16_bf16 v[72:75], v[98:99], a[102:103], v[72:75]// 000000007A1C: D3E10048 1522CD62
	v_fma_f32 v54, v54, s57, -v126                             // 000000007A24: D1CB0036 85F87336
	v_fma_f32 v55, v55, s57, -v127                             // 000000007A2C: D1CB0037 85FC7337
	v_fma_f32 v56, v56, s57, -v124                             // 000000007A34: D1CB0038 85F07338
	v_mfma_f32_16x16x16_bf16 v[72:75], v[100:101], a[104:105], v[72:75]// 000000007A3C: D3E10048 1522D164
	ds_read_b128 a[152:155], v12 offset:6528                   // 000000007A44: DBFE1980 9800000C
	ds_read_b128 a[156:159], v12 offset:7040                   // 000000007A4C: DBFE1B80 9C00000C
	v_mfma_f32_16x16x16_bf16 v[72:75], v[102:103], a[106:107], v[72:75]// 000000007A54: D3E10048 1522D566
	v_fma_f32 v57, v57, s57, -v125                             // 000000007A5C: D1CB0039 85F47339
	v_fma_f32 v58, v58, s57, -v126                             // 000000007A64: D1CB003A 85F8733A
	v_fma_f32 v59, v59, s57, -v127                             // 000000007A6C: D1CB003B 85FC733B
	v_mfma_f32_16x16x16_bf16 v[72:75], v[104:105], a[108:109], v[72:75]// 000000007A74: D3E10048 1522D968
	v_exp_f32_e32 v48, v48                                     // 000000007A7C: 7E604130
	v_mfma_f32_16x16x16_bf16 v[72:75], v[106:107], a[110:111], v[72:75]// 000000007A80: D3E10048 1522DD6A
	v_exp_f32_e32 v49, v49                                     // 000000007A88: 7E624131
	v_mfma_f32_16x16x16_bf16 v[76:79], v[92:93], a[112:113], 0 // 000000007A8C: D3E1004C 1202E15C
	ds_read_b64 v[136:137], v19 offset:24320                   // 000000007A94: D8EC5F00 88000013
	ds_read_b64 v[138:139], v19 offset:26368                   // 000000007A9C: D8EC6700 8A000013
	v_mfma_f32_16x16x16_bf16 v[76:79], v[94:95], a[114:115], v[76:79]// 000000007AA4: D3E1004C 1532E55E
	v_exp_f32_e32 v50, v50                                     // 000000007AAC: 7E644132
	v_mfma_f32_16x16x16_bf16 v[76:79], v[96:97], a[116:117], v[76:79]// 000000007AB0: D3E1004C 1532E960
	ds_read_b64 v[140:141], v19 offset:28416                   // 000000007AB8: D8EC6F00 8C000013
	ds_read_b64 v[142:143], v19 offset:30464                   // 000000007AC0: D8EC7700 8E000013
	v_mfma_f32_16x16x16_bf16 v[76:79], v[98:99], a[118:119], v[76:79]// 000000007AC8: D3E1004C 1532ED62
	v_exp_f32_e32 v51, v51                                     // 000000007AD0: 7E664133
	v_mfma_f32_16x16x16_bf16 v[76:79], v[100:101], a[120:121], v[76:79]// 000000007AD4: D3E1004C 1532F164
	v_exp_f32_e32 v52, v52                                     // 000000007ADC: 7E684134
	v_mfma_f32_16x16x16_bf16 v[76:79], v[102:103], a[122:123], v[76:79]// 000000007AE0: D3E1004C 1532F566
	v_exp_f32_e32 v53, v53                                     // 000000007AE8: 7E6A4135
	v_mfma_f32_16x16x16_bf16 v[76:79], v[104:105], a[124:125], v[76:79]// 000000007AEC: D3E1004C 1532F968
	v_exp_f32_e32 v54, v54                                     // 000000007AF4: 7E6C4136
	v_mfma_f32_16x16x16_bf16 v[76:79], v[106:107], a[126:127], v[76:79]// 000000007AF8: D3E1004C 1532FD6A
	v_exp_f32_e32 v55, v55                                     // 000000007B00: 7E6E4137
	v_mfma_f32_16x16x16_bf16 v[80:83], v[92:93], a[128:129], 0 // 000000007B04: D3E10050 1203015C
	v_exp_f32_e32 v56, v56                                     // 000000007B0C: 7E704138
	v_mfma_f32_16x16x16_bf16 v[80:83], v[94:95], a[130:131], v[80:83]// 000000007B10: D3E10050 1543055E
	v_exp_f32_e32 v57, v57                                     // 000000007B18: 7E724139
	v_mfma_f32_16x16x16_bf16 v[80:83], v[96:97], a[132:133], v[80:83]// 000000007B1C: D3E10050 15430960
	v_exp_f32_e32 v58, v58                                     // 000000007B24: 7E74413A
	v_mfma_f32_16x16x16_bf16 v[80:83], v[98:99], a[134:135], v[80:83]// 000000007B28: D3E10050 15430D62
	v_exp_f32_e32 v59, v59                                     // 000000007B30: 7E76413B
	v_mfma_f32_16x16x16_bf16 v[80:83], v[100:101], a[136:137], v[80:83]// 000000007B34: D3E10050 15431164
	v_cmp_u_f32_e64 s[78:79], v48, v48                         // 000000007B3C: D048004E 00026130
	v_add3_u32 v248, v48, v251, 1                              // 000000007B44: D1FF00F8 0207F730
	v_cndmask_b32_e64 v28, v248, v250, s[78:79]                // 000000007B4C: D100001C 013BF5F8
	v_cmp_u_f32_e64 s[78:79], v49, v49                         // 000000007B54: D048004E 00026331
	v_add3_u32 v248, v49, v251, 1                              // 000000007B5C: D1FF00F8 0207F731
	v_cndmask_b32_e64 v29, v248, v250, s[78:79]                // 000000007B64: D100001D 013BF5F8
	v_perm_b32 v144, v29, v28, s64                             // 000000007B6C: D1ED0090 0102391D
	v_cmp_u_f32_e64 s[78:79], v50, v50                         // 000000007B74: D048004E 00026532
	v_add3_u32 v248, v50, v251, 1                              // 000000007B7C: D1FF00F8 0207F732
	v_cndmask_b32_e64 v28, v248, v250, s[78:79]                // 000000007B84: D100001C 013BF5F8
	v_cmp_u_f32_e64 s[78:79], v51, v51                         // 000000007B8C: D048004E 00026733
	v_add3_u32 v248, v51, v251, 1                              // 000000007B94: D1FF00F8 0207F733
	v_cndmask_b32_e64 v29, v248, v250, s[78:79]                // 000000007B9C: D100001D 013BF5F8
	v_perm_b32 v145, v29, v28, s64                             // 000000007BA4: D1ED0091 0102391D
	v_cmp_u_f32_e64 s[78:79], v52, v52                         // 000000007BAC: D048004E 00026934
	v_add3_u32 v248, v52, v251, 1                              // 000000007BB4: D1FF00F8 0207F734
	v_cndmask_b32_e64 v28, v248, v250, s[78:79]                // 000000007BBC: D100001C 013BF5F8
	v_cmp_u_f32_e64 s[78:79], v53, v53                         // 000000007BC4: D048004E 00026B35
	v_add3_u32 v248, v53, v251, 1                              // 000000007BCC: D1FF00F8 0207F735
	v_cndmask_b32_e64 v29, v248, v250, s[78:79]                // 000000007BD4: D100001D 013BF5F8
	v_perm_b32 v146, v29, v28, s64                             // 000000007BDC: D1ED0092 0102391D
	v_mfma_f32_16x16x16_bf16 v[80:83], v[102:103], a[138:139], v[80:83]// 000000007BE4: D3E10050 15431566
	v_cmp_u_f32_e64 s[78:79], v54, v54                         // 000000007BEC: D048004E 00026D36
	v_add3_u32 v248, v54, v251, 1                              // 000000007BF4: D1FF00F8 0207F736
	v_cndmask_b32_e64 v28, v248, v250, s[78:79]                // 000000007BFC: D100001C 013BF5F8
	v_cmp_u_f32_e64 s[78:79], v55, v55                         // 000000007C04: D048004E 00026F37
	v_add3_u32 v248, v55, v251, 1                              // 000000007C0C: D1FF00F8 0207F737
	v_cndmask_b32_e64 v29, v248, v250, s[78:79]                // 000000007C14: D100001D 013BF5F8
	v_perm_b32 v147, v29, v28, s64                             // 000000007C1C: D1ED0093 0102391D
	v_cmp_u_f32_e64 s[78:79], v56, v56                         // 000000007C24: D048004E 00027138
	v_add3_u32 v248, v56, v251, 1                              // 000000007C2C: D1FF00F8 0207F738
	v_cndmask_b32_e64 v28, v248, v250, s[78:79]                // 000000007C34: D100001C 013BF5F8
	v_cmp_u_f32_e64 s[78:79], v57, v57                         // 000000007C3C: D048004E 00027339
	v_add3_u32 v248, v57, v251, 1                              // 000000007C44: D1FF00F8 0207F739
	v_cndmask_b32_e64 v29, v248, v250, s[78:79]                // 000000007C4C: D100001D 013BF5F8
	v_perm_b32 v148, v29, v28, s64                             // 000000007C54: D1ED0094 0102391D
	v_cmp_u_f32_e64 s[78:79], v58, v58                         // 000000007C5C: D048004E 0002753A
	v_add3_u32 v248, v58, v251, 1                              // 000000007C64: D1FF00F8 0207F73A
	v_cndmask_b32_e64 v28, v248, v250, s[78:79]                // 000000007C6C: D100001C 013BF5F8
	v_cmp_u_f32_e64 s[78:79], v59, v59                         // 000000007C74: D048004E 0002773B
	v_add3_u32 v248, v59, v251, 1                              // 000000007C7C: D1FF00F8 0207F73B
	v_cndmask_b32_e64 v29, v248, v250, s[78:79]                // 000000007C84: D100001D 013BF5F8
	v_perm_b32 v149, v29, v28, s64                             // 000000007C8C: D1ED0095 0102391D
	v_mfma_f32_16x16x16_bf16 v[80:83], v[104:105], a[140:141], v[80:83]// 000000007C94: D3E10050 15431968
	v_add_u32_e32 v7, s66, v7                                  // 000000007C9C: 680E0E42
	v_add_u32_e32 v8, s66, v8                                  // 000000007CA0: 68101042
	v_mfma_f32_16x16x16_bf16 v[80:83], v[106:107], a[142:143], v[80:83]// 000000007CA4: D3E10050 15431D6A
	s_waitcnt lgkmcnt(0)                                       // 000000007CAC: BF8CC07F
	s_barrier                                                  // 000000007CB0: BF8A0000
	v_mfma_f32_16x16x16_bf16 v[152:155], v[108:109], v[144:145], v[152:155]// 000000007CB4: D3E10098 0663216C
	v_subrev_f32_dpp v72, v150, v72 quad_perm:[0,0,0,0] row_mask:0xf bank_mask:0xf// 000000007CBC: 069090FA FF000096
	v_subrev_f32_dpp v73, v150, v73 quad_perm:[1,1,1,1] row_mask:0xf bank_mask:0xf// 000000007CC4: 069292FA FF005596
	v_subrev_f32_dpp v74, v150, v74 quad_perm:[2,2,2,2] row_mask:0xf bank_mask:0xf// 000000007CCC: 069494FA FF00AA96
	v_mfma_f32_16x16x16_bf16 v[156:159], v[110:111], v[144:145], v[156:159]// 000000007CD4: D3E1009C 0673216E
	v_subrev_f32_dpp v75, v150, v75 quad_perm:[3,3,3,3] row_mask:0xf bank_mask:0xf// 000000007CDC: 069696FA FF00FF96
	v_subrev_f32_dpp v76, v150, v76 quad_perm:[0,0,0,0] row_mask:0xf bank_mask:0xf// 000000007CE4: 069898FA FF000096
	v_subrev_f32_dpp v77, v150, v77 quad_perm:[1,1,1,1] row_mask:0xf bank_mask:0xf// 000000007CEC: 069A9AFA FF005596
	v_mfma_f32_16x16x16_bf16 v[160:163], v[112:113], v[144:145], v[160:163]// 000000007CF4: D3E100A0 06832170
	v_mul_f32_e32 v72, v48, v72                                // 000000007CFC: 0A909130
	v_mul_f32_e32 v73, v49, v73                                // 000000007D00: 0A929331
	v_mul_f32_e32 v74, v50, v74                                // 000000007D04: 0A949532
	v_mfma_f32_16x16x16_bf16 v[164:167], v[114:115], v[144:145], v[164:167]// 000000007D08: D3E100A4 06932172
	v_mul_f32_e32 v75, v51, v75                                // 000000007D10: 0A969733
	v_mul_f32_e32 v76, v52, v76                                // 000000007D14: 0A989934
	v_mul_f32_e32 v77, v53, v77                                // 000000007D18: 0A9A9B35
	v_mfma_f32_16x16x16_bf16 v[168:171], v[116:117], v[144:145], v[168:171]// 000000007D1C: D3E100A8 06A32174
	v_cmp_u_f32_e64 s[78:79], v72, v72                         // 000000007D24: D048004E 00029148
	v_add3_u32 v248, v72, v251, 1                              // 000000007D2C: D1FF00F8 0207F748
	v_cndmask_b32_e64 v28, v248, v250, s[78:79]                // 000000007D34: D100001C 013BF5F8
	v_cmp_u_f32_e64 s[78:79], v73, v73                         // 000000007D3C: D048004E 00029349
	v_add3_u32 v248, v73, v251, 1                              // 000000007D44: D1FF00F8 0207F749
	v_cndmask_b32_e64 v29, v248, v250, s[78:79]                // 000000007D4C: D100001D 013BF5F8
	v_perm_b32 v72, v29, v28, s64                              // 000000007D54: D1ED0048 0102391D
	v_cmp_u_f32_e64 s[78:79], v74, v74                         // 000000007D5C: D048004E 0002954A
	v_add3_u32 v248, v74, v251, 1                              // 000000007D64: D1FF00F8 0207F74A
	v_cndmask_b32_e64 v28, v248, v250, s[78:79]                // 000000007D6C: D100001C 013BF5F8
	v_cmp_u_f32_e64 s[78:79], v75, v75                         // 000000007D74: D048004E 0002974B
	v_add3_u32 v248, v75, v251, 1                              // 000000007D7C: D1FF00F8 0207F74B
	v_cndmask_b32_e64 v29, v248, v250, s[78:79]                // 000000007D84: D100001D 013BF5F8
	v_perm_b32 v73, v29, v28, s64                              // 000000007D8C: D1ED0049 0102391D
	v_cmp_u_f32_e64 s[78:79], v76, v76                         // 000000007D94: D048004E 0002994C
	v_add3_u32 v248, v76, v251, 1                              // 000000007D9C: D1FF00F8 0207F74C
	v_cndmask_b32_e64 v28, v248, v250, s[78:79]                // 000000007DA4: D100001C 013BF5F8
	v_cmp_u_f32_e64 s[78:79], v77, v77                         // 000000007DAC: D048004E 00029B4D
	v_add3_u32 v248, v77, v251, 1                              // 000000007DB4: D1FF00F8 0207F74D
	v_cndmask_b32_e64 v29, v248, v250, s[78:79]                // 000000007DBC: D100001D 013BF5F8
	v_perm_b32 v74, v29, v28, s64                              // 000000007DC4: D1ED004A 0102391D
	v_mfma_f32_16x16x16_bf16 v[172:175], v[118:119], v[144:145], v[172:175]// 000000007DCC: D3E100AC 06B32176
	v_mov_b32_dpp v16, v72 quad_perm:[1,0,3,2] row_mask:0xf bank_mask:0xf// 000000007DD4: 7E2002FA FF00B148
	v_perm_b32 v48, v16, v72, v15                              // 000000007DDC: D1ED0030 043E9110
	v_mov_b32_dpp v16, v73 quad_perm:[1,0,3,2] row_mask:0xf bank_mask:0xf// 000000007DE4: 7E2002FA FF00B149
	v_mfma_f32_16x16x16_bf16 v[176:179], v[120:121], v[144:145], v[176:179]// 000000007DEC: D3E100B0 06C32178
	v_perm_b32 v49, v16, v73, v15                              // 000000007DF4: D1ED0031 043E9310
	v_mov_b32_dpp v16, v74 quad_perm:[1,0,3,2] row_mask:0xf bank_mask:0xf// 000000007DFC: 7E2002FA FF00B14A
	v_perm_b32 v50, v16, v74, v15                              // 000000007E04: D1ED0032 043E9510
	v_mfma_f32_16x16x16_bf16 v[180:183], v[122:123], v[144:145], v[180:183]// 000000007E0C: D3E100B4 06D3217A
	ds_write_b32 v18, v48 offset:17408                         // 000000007E14: D81A4400 00003012
	v_mfma_f32_16x16x16_bf16 v[184:187], v[108:109], v[146:147], v[184:187]// 000000007E1C: D3E100B8 06E3256C
	v_subrev_f32_dpp v78, v150, v78 quad_perm:[2,2,2,2] row_mask:0xf bank_mask:0xf// 000000007E24: 069C9CFA FF00AA96
	v_subrev_f32_dpp v79, v150, v79 quad_perm:[3,3,3,3] row_mask:0xf bank_mask:0xf// 000000007E2C: 069E9EFA FF00FF96
	v_subrev_f32_dpp v80, v150, v80 quad_perm:[0,0,0,0] row_mask:0xf bank_mask:0xf// 000000007E34: 06A0A0FA FF000096
	v_mfma_f32_16x16x16_bf16 v[188:191], v[110:111], v[146:147], v[188:191]// 000000007E3C: D3E100BC 06F3256E
	ds_write_b32 v18, v49 offset:17952                         // 000000007E44: D81A4620 00003112
	v_mfma_f32_16x16x16_bf16 v[192:195], v[112:113], v[146:147], v[192:195]// 000000007E4C: D3E100C0 07032570
	v_subrev_f32_dpp v81, v150, v81 quad_perm:[1,1,1,1] row_mask:0xf bank_mask:0xf// 000000007E54: 06A2A2FA FF005596
	v_subrev_f32_dpp v82, v150, v82 quad_perm:[2,2,2,2] row_mask:0xf bank_mask:0xf// 000000007E5C: 06A4A4FA FF00AA96
	v_subrev_f32_dpp v83, v150, v83 quad_perm:[3,3,3,3] row_mask:0xf bank_mask:0xf// 000000007E64: 06A6A6FA FF00FF96
	v_mfma_f32_16x16x16_bf16 v[196:199], v[114:115], v[146:147], v[196:199]// 000000007E6C: D3E100C4 07132572
	ds_write_b32 v18, v50 offset:19712                         // 000000007E74: D81A4D00 00003212
	v_mfma_f32_16x16x16_bf16 v[200:203], v[116:117], v[146:147], v[200:203]// 000000007E7C: D3E100C8 07232574
	v_mul_f32_e32 v78, v54, v78                                // 000000007E84: 0A9C9D36
	v_mul_f32_e32 v79, v55, v79                                // 000000007E88: 0A9E9F37
	v_mul_f32_e32 v80, v56, v80                                // 000000007E8C: 0AA0A138
	v_mfma_f32_16x16x16_bf16 v[204:207], v[118:119], v[146:147], v[204:207]// 000000007E90: D3E100CC 07332576
	v_mul_f32_e32 v81, v57, v81                                // 000000007E98: 0AA2A339
	v_mul_f32_e32 v82, v58, v82                                // 000000007E9C: 0AA4A53A
	v_mul_f32_e32 v83, v59, v83                                // 000000007EA0: 0AA6A73B
	v_mfma_f32_16x16x16_bf16 v[208:211], v[120:121], v[146:147], v[208:211]// 000000007EA4: D3E100D0 07432578
	v_cmp_u_f32_e64 s[78:79], v78, v78                         // 000000007EAC: D048004E 00029D4E
	v_add3_u32 v248, v78, v251, 1                              // 000000007EB4: D1FF00F8 0207F74E
	v_cndmask_b32_e64 v28, v248, v250, s[78:79]                // 000000007EBC: D100001C 013BF5F8
	v_cmp_u_f32_e64 s[78:79], v79, v79                         // 000000007EC4: D048004E 00029F4F
	v_add3_u32 v248, v79, v251, 1                              // 000000007ECC: D1FF00F8 0207F74F
	v_cndmask_b32_e64 v29, v248, v250, s[78:79]                // 000000007ED4: D100001D 013BF5F8
	v_perm_b32 v75, v29, v28, s64                              // 000000007EDC: D1ED004B 0102391D
	v_cmp_u_f32_e64 s[78:79], v80, v80                         // 000000007EE4: D048004E 0002A150
	v_add3_u32 v248, v80, v251, 1                              // 000000007EEC: D1FF00F8 0207F750
	v_cndmask_b32_e64 v28, v248, v250, s[78:79]                // 000000007EF4: D100001C 013BF5F8
	v_cmp_u_f32_e64 s[78:79], v81, v81                         // 000000007EFC: D048004E 0002A351
	v_add3_u32 v248, v81, v251, 1                              // 000000007F04: D1FF00F8 0207F751
	v_cndmask_b32_e64 v29, v248, v250, s[78:79]                // 000000007F0C: D100001D 013BF5F8
	v_perm_b32 v76, v29, v28, s64                              // 000000007F14: D1ED004C 0102391D
	v_cmp_u_f32_e64 s[78:79], v82, v82                         // 000000007F1C: D048004E 0002A552
	v_add3_u32 v248, v82, v251, 1                              // 000000007F24: D1FF00F8 0207F752
	v_cndmask_b32_e64 v28, v248, v250, s[78:79]                // 000000007F2C: D100001C 013BF5F8
	v_cmp_u_f32_e64 s[78:79], v83, v83                         // 000000007F34: D048004E 0002A753
	v_add3_u32 v248, v83, v251, 1                              // 000000007F3C: D1FF00F8 0207F753
	v_cndmask_b32_e64 v29, v248, v250, s[78:79]                // 000000007F44: D100001D 013BF5F8
	v_perm_b32 v77, v29, v28, s64                              // 000000007F4C: D1ED004D 0102391D
	v_mfma_f32_16x16x16_bf16 v[212:215], v[122:123], v[146:147], v[212:215]// 000000007F54: D3E100D4 0753257A
	v_mov_b32_dpp v16, v75 quad_perm:[1,0,3,2] row_mask:0xf bank_mask:0xf// 000000007F5C: 7E2002FA FF00B14B
	v_perm_b32 v51, v16, v75, v15                              // 000000007F64: D1ED0033 043E9710
	v_mov_b32_dpp v16, v76 quad_perm:[1,0,3,2] row_mask:0xf bank_mask:0xf// 000000007F6C: 7E2002FA FF00B14C
	v_mfma_f32_16x16x16_bf16 v[216:219], v[108:109], v[148:149], v[216:219]// 000000007F74: D3E100D8 0763296C
	v_perm_b32 v52, v16, v76, v15                              // 000000007F7C: D1ED0034 043E9910
	v_mov_b32_dpp v16, v77 quad_perm:[1,0,3,2] row_mask:0xf bank_mask:0xf// 000000007F84: 7E2002FA FF00B14D
	v_perm_b32 v53, v16, v77, v15                              // 000000007F8C: D1ED0035 043E9B10
	v_mfma_f32_16x16x16_bf16 v[220:223], v[110:111], v[148:149], v[220:223]// 000000007F94: D3E100DC 0773296E
	ds_write_b32 v18, v51 offset:20256                         // 000000007F9C: D81A4F20 00003312
	v_mfma_f32_16x16x16_bf16 v[224:227], v[112:113], v[148:149], v[224:227]// 000000007FA4: D3E100E0 07832970
	v_mfma_f32_16x16x16_bf16 v[228:231], v[114:115], v[148:149], v[228:231]// 000000007FAC: D3E100E4 07932972
	ds_write_b32 v18, v52 offset:22016                         // 000000007FB4: D81A5600 00003412
	ds_write_b32 v18, v53 offset:22560                         // 000000007FBC: D81A5820 00003512
	v_mfma_f32_16x16x16_bf16 v[232:235], v[116:117], v[148:149], v[232:235]// 000000007FC4: D3E100E8 07A32974
	v_mfma_f32_16x16x16_bf16 v[236:239], v[118:119], v[148:149], v[236:239]// 000000007FCC: D3E100EC 07B32976
	ds_write_b32 v13, v84 offset:4352                          // 000000007FD4: D81A1100 0000540D
	ds_write_b32 v13, v85 offset:5408                          // 000000007FDC: D81A1520 0000550D
	v_mfma_f32_16x16x16_bf16 v[240:243], v[120:121], v[148:149], v[240:243]// 000000007FE4: D3E100F0 07C32978
	s_nop 0                                                    // 000000007FEC: BF800000
	s_nop 0                                                    // 000000007FF0: BF800000
	s_nop 0                                                    // 000000007FF4: BF800000
	v_mfma_f32_16x16x16_bf16 v[244:247], v[122:123], v[148:149], v[244:247]// 000000007FF8: D3E100F4 07D3297A
	ds_write_b32 v13, v86 offset:4480                          // 000000008000: D81A1180 0000560D
	ds_write_b32 v13, v87 offset:5536                          // 000000008008: D81A15A0 0000570D
	s_barrier                                                  // 000000008010: BF8A0000
	v_mfma_f32_16x16x16_bf16 a[160:163], a[144:145], v[72:73], a[160:163]// 000000008014: D3E180A0 0E829190
	buffer_atomic_add_f32 v136, v7, s[32:35], 0 offen          // 00000000801C: E1341000 80088807
	v_mfma_f32_16x16x16_bf16 a[164:167], a[146:147], v[72:73], a[164:167]// 000000008024: D3E180A4 0E929192
	ds_read_b32 v124, v21 offset:50688                         // 00000000802C: D86CC600 7C000015
	ds_read_b32 v150, v21 offset:50944                         // 000000008034: D86CC700 96000015
	v_mfma_f32_16x16x16_bf16 a[168:171], a[148:149], v[72:73], a[168:171]// 00000000803C: D3E180A8 0EA29194
	s_waitcnt lgkmcnt(6)                                       // 000000008044: BF8CC67F
	s_barrier                                                  // 000000008048: BF8A0000
	v_mfma_f32_16x16x16_bf16 a[172:175], a[150:151], v[72:73], a[172:175]// 00000000804C: D3E180AC 0EB29196
	ds_read_b128 v[48:51], v17 offset:17408                    // 000000008054: D9FE4400 30000011
	v_mfma_f32_16x16x16_bf16 a[176:179], a[152:153], v[72:73], a[176:179]// 00000000805C: D3E180B0 0EC29198
	v_mfma_f32_16x16x16_bf16 a[180:183], a[154:155], v[72:73], a[180:183]// 000000008064: D3E180B4 0ED2919A
	ds_read_b128 v[52:55], v17 offset:18560                    // 00000000806C: D9FE4880 34000011
	v_mfma_f32_16x16x16_bf16 a[184:187], a[156:157], v[72:73], a[184:187]// 000000008074: D3E180B8 0EE2919C
	buffer_atomic_add_f32 v137, v8, s[32:35], 0 offen          // 00000000807C: E1341000 80088908
	v_mfma_f32_16x16x16_bf16 a[188:191], a[158:159], v[72:73], a[188:191]// 000000008084: D3E180BC 0EF2919E
	ds_read_b128 v[56:59], v17 offset:19712                    // 00000000808C: D9FE4D00 38000011
	v_mfma_f32_16x16x16_bf16 a[192:195], a[144:145], v[74:75], a[192:195]// 000000008094: D3E180C0 0F029590
	v_mfma_f32_16x16x16_bf16 a[196:199], a[146:147], v[74:75], a[196:199]// 00000000809C: D3E180C4 0F129592
	ds_read_b128 v[60:63], v17 offset:20864                    // 0000000080A4: D9FE5180 3C000011
	v_mfma_f32_16x16x16_bf16 a[200:203], a[148:149], v[74:75], a[200:203]// 0000000080AC: D3E180C8 0F229594
	v_mfma_f32_16x16x16_bf16 a[204:207], a[150:151], v[74:75], a[204:207]// 0000000080B4: D3E180CC 0F329596
	ds_read_b128 v[64:67], v17 offset:22016                    // 0000000080BC: D9FE5600 40000011
	v_mfma_f32_16x16x16_bf16 a[208:211], a[152:153], v[74:75], a[208:211]// 0000000080C4: D3E180D0 0F429598
	buffer_atomic_add_f32 v138, v7, s[32:35], 0 offen offset:128// 0000000080CC: E1341080 80088A07
	v_mfma_f32_16x16x16_bf16 a[212:215], a[154:155], v[74:75], a[212:215]// 0000000080D4: D3E180D4 0F52959A
	ds_read_b128 v[68:71], v17 offset:23168                    // 0000000080DC: D9FE5A80 44000011
	v_mfma_f32_16x16x16_bf16 a[216:219], a[156:157], v[74:75], a[216:219]// 0000000080E4: D3E180D8 0F62959C
	v_mfma_f32_16x16x16_bf16 a[220:223], a[158:159], v[74:75], a[220:223]// 0000000080EC: D3E180DC 0F72959E
	ds_write_b32 v13, v88 offset:13056                         // 0000000080F4: D81A3300 0000580D
	v_mfma_f32_16x16x16_bf16 a[224:227], a[144:145], v[76:77], a[224:227]// 0000000080FC: D3E180E0 0F829990
	v_mfma_f32_16x16x16_bf16 a[228:231], a[146:147], v[76:77], a[228:231]// 000000008104: D3E180E4 0F929992
	ds_write_b32 v13, v89 offset:14112                         // 00000000810C: D81A3720 0000590D
	v_mfma_f32_16x16x16_bf16 a[232:235], a[148:149], v[76:77], a[232:235]// 000000008114: D3E180E8 0FA29994
	buffer_atomic_add_f32 v139, v8, s[32:35], 0 offen offset:128// 00000000811C: E1341080 80088B08
	v_mfma_f32_16x16x16_bf16 a[236:239], a[150:151], v[76:77], a[236:239]// 000000008124: D3E180EC 0FB29996
	ds_write_b32 v13, v90 offset:13184                         // 00000000812C: D81A3380 00005A0D
	v_mfma_f32_16x16x16_bf16 a[240:243], a[152:153], v[76:77], a[240:243]// 000000008134: D3E180F0 0FC29998
	v_mfma_f32_16x16x16_bf16 a[244:247], a[154:155], v[76:77], a[244:247]// 00000000813C: D3E180F4 0FD2999A
	ds_write_b32 v13, v91 offset:14240                         // 000000008144: D81A37A0 00005B0D
	v_mfma_f32_16x16x16_bf16 a[248:251], a[156:157], v[76:77], a[248:251]// 00000000814C: D3E180F8 0FE2999C
	v_mfma_f32_16x16x16_bf16 a[252:255], a[158:159], v[76:77], a[252:255]// 000000008154: D3E180FC 0FF2999E
	s_waitcnt vmcnt(8) lgkmcnt(4)                              // 00000000815C: BF8C0478
	s_barrier                                                  // 000000008160: BF8A0000
	v_mfma_f32_16x16x16_bf16 v[128:131], v[48:49], a[48:49], 0 // 000000008164: D3E10080 12026130
	v_mul_f32_e32 v124, s48, v124                              // 00000000816C: 0AF8F830
	s_nop 0                                                    // 000000008170: BF800000
	v_mfma_f32_16x16x16_bf16 v[128:131], v[50:51], a[52:53], v[128:131]// 000000008174: D3E10080 16026932
	ds_read_b128 a[144:147], v10                               // 00000000817C: DBFE0000 9000000A
	v_mov_b32_e32 v32, 0                                       // 000000008184: 7E400280
	s_mov_b64 exec, s[90:91]                                   // 000000008188: BEFE015A
	buffer_load_dword v32, v1, s[8:11], 0 idxen                // 00000000818C: E0502000 80022001
	s_mov_b32 exec_lo, -1                                      // 000000008194: BEFE00C1
	s_mov_b32 exec_hi, -1                                      // 000000008198: BEFF00C1
	v_mfma_f32_16x16x16_bf16 v[128:131], v[52:53], a[56:57], v[128:131]// 00000000819C: D3E10080 16027134
	v_mfma_f32_16x16x16_bf16 v[128:131], v[54:55], a[60:61], v[128:131]// 0000000081A4: D3E10080 16027936
	ds_read_b128 a[148:151], v10 offset:512                    // 0000000081AC: DBFE0200 9400000A
	v_mov_b32_e32 v33, 0                                       // 0000000081B4: 7E420280
	s_mov_b64 exec, s[90:91]                                   // 0000000081B8: BEFE015A
	buffer_load_dword v33, v2, s[8:11], 0 idxen                // 0000000081BC: E0502000 80022102
	s_mov_b32 exec_lo, -1                                      // 0000000081C4: BEFE00C1
	s_mov_b32 exec_hi, -1                                      // 0000000081C8: BEFF00C1
	v_mfma_f32_16x16x16_bf16 v[128:131], v[56:57], a[64:65], v[128:131]// 0000000081CC: D3E10080 16028138
	v_perm_b32 v84, v37, v36, s63                              // 0000000081D4: D1ED0054 00FE4925
	v_perm_b32 v85, v37, v36, s64                              // 0000000081DC: D1ED0055 01024925
	v_mfma_f32_16x16x16_bf16 v[128:131], v[58:59], a[68:69], v[128:131]// 0000000081E4: D3E10080 1602893A
	ds_read_b128 a[152:155], v10 offset:2176                   // 0000000081EC: DBFE0880 9800000A
	v_mov_b32_e32 v34, 0                                       // 0000000081F4: 7E440280
	s_mov_b64 exec, s[90:91]                                   // 0000000081F8: BEFE015A
	buffer_load_dword v34, v3, s[8:11], 0 idxen                // 0000000081FC: E0502000 80022203
	s_mov_b32 exec_lo, -1                                      // 000000008204: BEFE00C1
	s_mov_b32 exec_hi, -1                                      // 000000008208: BEFF00C1
	v_mfma_f32_16x16x16_bf16 v[128:131], v[60:61], a[72:73], v[128:131]// 00000000820C: D3E10080 1602913C
	v_perm_b32 v86, v39, v38, s63                              // 000000008214: D1ED0056 00FE4D27
	v_perm_b32 v87, v39, v38, s64                              // 00000000821C: D1ED0057 01024D27
	v_mfma_f32_16x16x16_bf16 v[128:131], v[62:63], a[76:77], v[128:131]// 000000008224: D3E10080 1602993E
	ds_read_b128 a[156:159], v10 offset:2688                   // 00000000822C: DBFE0A80 9C00000A
	v_mov_b32_e32 v35, 0                                       // 000000008234: 7E460280
	s_mov_b64 exec, s[90:91]                                   // 000000008238: BEFE015A
	buffer_load_dword v35, v4, s[8:11], 0 idxen                // 00000000823C: E0502000 80022304
	s_mov_b32 exec_lo, -1                                      // 000000008244: BEFE00C1
	s_mov_b32 exec_hi, -1                                      // 000000008248: BEFF00C1
	v_mfma_f32_16x16x16_bf16 v[128:131], v[64:65], a[80:81], v[128:131]// 00000000824C: D3E10080 1602A140
	v_perm_b32 v88, v45, v44, s63                              // 000000008254: D1ED0058 00FE592D
	v_perm_b32 v89, v45, v44, s64                              // 00000000825C: D1ED0059 0102592D
	v_mfma_f32_16x16x16_bf16 v[128:131], v[66:67], a[84:85], v[128:131]// 000000008264: D3E10080 1602A942
	ds_read_b128 v[92:95], v10 offset:8704                     // 00000000826C: D9FE2200 5C00000A
	v_mov_b32_e32 v40, 0                                       // 000000008274: 7E500280
	s_mov_b64 exec, s[90:91]                                   // 000000008278: BEFE015A
	buffer_load_dword v40, v252, s[20:23], 0 idxen             // 00000000827C: E0502000 800528FC
	s_mov_b32 exec_lo, -1                                      // 000000008284: BEFE00C1
	s_mov_b32 exec_hi, -1                                      // 000000008288: BEFF00C1
	v_mfma_f32_16x16x16_bf16 v[128:131], v[68:69], a[88:89], v[128:131]// 00000000828C: D3E10080 1602B144
	v_perm_b32 v90, v47, v46, s63                              // 000000008294: D1ED005A 00FE5D2F
	v_perm_b32 v91, v47, v46, s64                              // 00000000829C: D1ED005B 01025D2F
	v_mfma_f32_16x16x16_bf16 v[128:131], v[70:71], a[92:93], v[128:131]// 0000000082A4: D3E10080 1602B946
	ds_read_b128 v[96:99], v10 offset:9216                     // 0000000082AC: D9FE2400 6000000A
	v_mov_b32_e32 v41, 0                                       // 0000000082B4: 7E520280
	s_mov_b64 exec, s[90:91]                                   // 0000000082B8: BEFE015A
	buffer_load_dword v41, v253, s[20:23], 0 idxen             // 0000000082BC: E0502000 800529FD
	s_mov_b32 exec_lo, -1                                      // 0000000082C4: BEFE00C1
	s_mov_b32 exec_hi, -1                                      // 0000000082C8: BEFF00C1
	v_mfma_f32_16x16x16_bf16 v[132:135], v[48:49], a[50:51], 0 // 0000000082CC: D3E10084 12026530
	v_mov_b32_dpp v127, v124 quad_perm:[3,3,3,3] row_mask:0xf bank_mask:0xf// 0000000082D4: 7EFE02FA FF00FF7C
	v_mov_b32_dpp v126, v124 quad_perm:[2,2,2,2] row_mask:0xf bank_mask:0xf// 0000000082DC: 7EFC02FA FF00AA7C
	v_mfma_f32_16x16x16_bf16 v[132:135], v[50:51], a[54:55], v[132:135]// 0000000082E4: D3E10084 16126D32
	ds_read_b128 v[100:103], v10 offset:10880                  // 0000000082EC: D9FE2A80 6400000A
	v_mov_b32_e32 v42, 0                                       // 0000000082F4: 7E540280
	s_mov_b64 exec, s[90:91]                                   // 0000000082F8: BEFE015A
	buffer_load_dword v42, v254, s[20:23], 0 idxen             // 0000000082FC: E0502000 80052AFE
	s_mov_b32 exec_lo, -1                                      // 000000008304: BEFE00C1
	s_mov_b32 exec_hi, -1                                      // 000000008308: BEFF00C1
	v_mfma_f32_16x16x16_bf16 v[132:135], v[52:53], a[58:59], v[132:135]// 00000000830C: D3E10084 16127534
	v_mov_b32_dpp v125, v124 quad_perm:[1,1,1,1] row_mask:0xf bank_mask:0xf// 000000008314: 7EFA02FA FF00557C
	v_mov_b32_dpp v124, v124 quad_perm:[0,0,0,0] row_mask:0xf bank_mask:0xf// 00000000831C: 7EF802FA FF00007C
	s_add_u32 s60, 64, s59                                     // 000000008324: 803C3BC0
	v_mfma_f32_16x16x16_bf16 v[132:135], v[54:55], a[62:63], v[132:135]// 000000008328: D3E10084 16127D36
	ds_read_b128 v[104:107], v10 offset:11392                  // 000000008330: D9FE2C80 6800000A
	v_mov_b32_e32 v43, 0                                       // 000000008338: 7E560280
	s_mov_b64 exec, s[90:91]                                   // 00000000833C: BEFE015A
	buffer_load_dword v43, v255, s[20:23], 0 idxen             // 000000008340: E0502000 80052BFF
	s_mov_b32 exec_lo, -1                                      // 000000008348: BEFE00C1
	s_mov_b32 exec_hi, -1                                      // 00000000834C: BEFF00C1
	v_mfma_f32_16x16x16_bf16 v[132:135], v[56:57], a[66:67], v[132:135]// 000000008350: D3E10084 16128538
	s_cmp_lt_u32 s60, s58                                      // 000000008358: BF0A3A3C
	s_cselect_b32 s68, s68, 0                                  // 00000000835C: 85448044
	s_cselect_b32 s99, s99, 0                                  // 000000008360: 85638063
	s_cselect_b32 s69, s69, 0                                  // 000000008364: 85458045
	v_mfma_f32_16x16x16_bf16 v[132:135], v[58:59], a[70:71], v[132:135]// 000000008368: D3E10084 16128D3A
	buffer_load_dword v9, s[24:27], 0 idxen lds                // 000000008370: E0512000 80060009
	v_mfma_f32_16x16x16_bf16 v[132:135], v[60:61], a[74:75], v[132:135]// 000000008378: D3E10084 1612953C
	v_add_u32_e32 v1, s68, v1                                  // 000000008380: 68020244
	v_add_u32_e32 v2, s68, v2                                  // 000000008384: 68040444
	;; [unrolled: 1-line block ×3, first 2 shown]
	v_add_u32_e32 v4, s68, v4                                  // 00000000838C: 68080844
	v_mfma_f32_16x16x16_bf16 v[132:135], v[62:63], a[78:79], v[132:135]// 000000008390: D3E10084 16129D3E
	v_add_u32_e32 v252, s99, v252                              // 000000008398: 69F9F863
	v_add_u32_e32 v253, s99, v253                              // 00000000839C: 69FBFA63
	v_add_u32_e32 v254, s99, v254                              // 0000000083A0: 69FDFC63
	v_add_u32_e32 v255, s99, v255                              // 0000000083A4: 69FFFE63
	v_mfma_f32_16x16x16_bf16 v[132:135], v[64:65], a[82:83], v[132:135]// 0000000083A8: D3E10084 1612A540
	s_mov_b32 m0, s81                                          // 0000000083B0: BEFC0051
	v_add_u32_e32 v9, s69, v9                                  // 0000000083B4: 68121245
	v_mfma_f32_16x16x16_bf16 v[132:135], v[66:67], a[86:87], v[132:135]// 0000000083B8: D3E10084 1612AD42
	s_cmp_ge_u32 s59, s73                                      // 0000000083C0: BF09493B
	s_cselect_b32 s66, s67, s66                                // 0000000083C4: 85424243
	v_mfma_f32_16x16x16_bf16 v[132:135], v[68:69], a[90:91], v[132:135]// 0000000083C8: D3E10084 1612B544
	s_addk_i32 s59, 0x10                                       // 0000000083D0: B73B0010
	s_nop 0                                                    // 0000000083D4: BF800000
	s_cmp_lt_i32 s59, s58                                      // 0000000083D8: BF043A3B
	v_mfma_f32_16x16x16_bf16 v[132:135], v[70:71], a[94:95], v[132:135]// 0000000083DC: D3E10084 1612BD46
	s_cbranch_scc0 label_1185                                  // 0000000083E4: BF840001
	s_branch label_0A7C                                        // 0000000083E8: BF82F901

00000000000083ec <label_1185>:
	s_nop 0                                                    // 0000000083EC: BF800000
	s_nop 0                                                    // 0000000083F0: BF800000
	s_branch label_1891                                        // 0000000083F4: BF8206FF

00000000000083f8 <label_1188>:
	s_waitcnt lgkmcnt(0)                                       // 0000000083F8: BF8CC07F
	s_barrier                                                  // 0000000083FC: BF8A0000
	v_mfma_f32_16x16x16_bf16 v[48:51], a[144:145], a[0:1], 0   // 000000008400: D3E10030 1A020190
	v_mul_f32_e32 v128, s47, v128                              // 000000008408: 0B01002F
	v_mul_f32_e32 v129, s47, v129                              // 00000000840C: 0B03022F
	v_mfma_f32_16x16x16_bf16 v[48:51], a[146:147], a[2:3], v[48:51]// 000000008410: D3E10030 1CC20592
	ds_write_b32 v11, v44 offset:8704                          // 000000008418: D81A2200 00002C0B
	ds_write_b32 v11, v45 offset:9760                          // 000000008420: D81A2620 00002D0B
	v_mfma_f32_16x16x16_bf16 v[48:51], a[148:149], a[4:5], v[48:51]// 000000008428: D3E10030 1CC20994
	v_mul_f32_e32 v130, s47, v130                              // 000000008430: 0B05042F
	v_mul_f32_e32 v131, s47, v131                              // 000000008434: 0B07062F
	v_mfma_f32_16x16x16_bf16 v[48:51], a[150:151], a[6:7], v[48:51]// 000000008438: D3E10030 1CC20D96
	ds_write_b32 v11, v46 offset:8832                          // 000000008440: D81A2280 00002E0B
	ds_write_b32 v11, v47 offset:9888                          // 000000008448: D81A26A0 00002F0B
	v_mfma_f32_16x16x16_bf16 v[48:51], a[152:153], a[8:9], v[48:51]// 000000008450: D3E10030 1CC21198
	v_mul_f32_e32 v132, s47, v132                              // 000000008458: 0B09082F
	v_mul_f32_e32 v133, s47, v133                              // 00000000845C: 0B0B0A2F
	v_mfma_f32_16x16x16_bf16 v[48:51], a[154:155], a[10:11], v[48:51]// 000000008460: D3E10030 1CC2159A
	ds_write_b64 v20, v[128:129] offset:24320                  // 000000008468: D89A5F00 00008014
	v_mfma_f32_16x16x16_bf16 v[48:51], a[156:157], a[12:13], v[48:51]// 000000008470: D3E10030 1CC2199C
	v_mul_f32_e32 v134, s47, v134                              // 000000008478: 0B0D0C2F
	v_mul_f32_e32 v135, s47, v135                              // 00000000847C: 0B0F0E2F
	v_mfma_f32_16x16x16_bf16 v[48:51], a[158:159], a[14:15], v[48:51]// 000000008480: D3E10030 1CC21D9E
	ds_write_b64 v20, v[130:131] offset:24832                  // 000000008488: D89A6100 00008214
	v_mfma_f32_16x16x16_bf16 v[52:55], a[144:145], a[16:17], 0 // 000000008490: D3E10034 1A022190
	buffer_atomic_add_f32 v140, v7, s[32:35], 0 offen offset:256// 000000008498: E1341100 80088C07
	v_mfma_f32_16x16x16_bf16 v[52:55], a[146:147], a[18:19], v[52:55]// 0000000084A0: D3E10034 1CD22592
	ds_write_b64 v20, v[132:133] offset:25344                  // 0000000084A8: D89A6300 00008414
	v_mfma_f32_16x16x16_bf16 v[52:55], a[148:149], a[20:21], v[52:55]// 0000000084B0: D3E10034 1CD22994
	v_mfma_f32_16x16x16_bf16 v[52:55], a[150:151], a[22:23], v[52:55]// 0000000084B8: D3E10034 1CD22D96
	ds_write_b64 v20, v[134:135] offset:25856                  // 0000000084C0: D89A6500 00008614
	v_mfma_f32_16x16x16_bf16 v[52:55], a[152:153], a[24:25], v[52:55]// 0000000084C8: D3E10034 1CD23198
	buffer_atomic_add_f32 v141, v8, s[32:35], 0 offen offset:256// 0000000084D0: E1341100 80088D08
	v_mfma_f32_16x16x16_bf16 v[52:55], a[154:155], a[26:27], v[52:55]// 0000000084D8: D3E10034 1CD2359A
	ds_read_b128 v[108:111], v12 offset:13056                  // 0000000084E0: D9FE3300 6C00000C
	ds_write_b32 v11, v36                                      // 0000000084E8: D81A0000 0000240B
	v_mfma_f32_16x16x16_bf16 v[52:55], a[156:157], a[28:29], v[52:55]// 0000000084F0: D3E10034 1CD2399C
	v_mfma_f32_16x16x16_bf16 v[52:55], a[158:159], a[30:31], v[52:55]// 0000000084F8: D3E10034 1CD23D9E
	v_mfma_f32_16x16x16_bf16 v[56:59], a[144:145], a[32:33], 0 // 000000008500: D3E10038 1A024190
	ds_read_b128 v[112:115], v12 offset:13568                  // 000000008508: D9FE3500 7000000C
	ds_write_b32 v11, v37 offset:1056                          // 000000008510: D81A0420 0000250B
	v_mfma_f32_16x16x16_bf16 v[56:59], a[146:147], a[34:35], v[56:59]// 000000008518: D3E10038 1CE24592
	buffer_atomic_add_f32 v142, v7, s[32:35], 0 offen offset:384// 000000008520: E1341180 80088E07
	v_mfma_f32_16x16x16_bf16 v[56:59], a[148:149], a[36:37], v[56:59]// 000000008528: D3E10038 1CE24994
	v_mfma_f32_16x16x16_bf16 v[56:59], a[150:151], a[38:39], v[56:59]// 000000008530: D3E10038 1CE24D96
	ds_read_b128 v[116:119], v12 offset:15232                  // 000000008538: D9FE3B80 7400000C
	ds_write_b32 v11, v38 offset:128                           // 000000008540: D81A0080 0000260B
	v_mfma_f32_16x16x16_bf16 v[56:59], a[152:153], a[40:41], v[56:59]// 000000008548: D3E10038 1CE25198
	v_mfma_f32_16x16x16_bf16 v[56:59], a[154:155], a[42:43], v[56:59]// 000000008550: D3E10038 1CE2559A
	buffer_atomic_add_f32 v143, v8, s[32:35], 0 offen offset:384// 000000008558: E1341180 80088F08
	v_mfma_f32_16x16x16_bf16 v[56:59], a[156:157], a[44:45], v[56:59]// 000000008560: D3E10038 1CE2599C
	ds_read_b128 v[120:123], v12 offset:15744                  // 000000008568: D9FE3D80 7800000C
	ds_write_b32 v11, v39 offset:1184                          // 000000008570: D81A04A0 0000270B
	v_mfma_f32_16x16x16_bf16 v[56:59], a[158:159], a[46:47], v[56:59]// 000000008578: D3E10038 1CE25D9E
	s_cmp_eq_i32 s94, 0                                        // 000000008580: BF00805E
	s_cbranch_scc1 label_1280                                  // 000000008584: BF85008F
	s_cmp_lt_i32 s74, 12                                       // 000000008588: BF048C4A
	s_cbranch_scc0 label_122B                                  // 00000000858C: BF84003D
	s_lshl_b32 s60, s74, 4                                     // 000000008590: 8E3C844A
	v_sub_i32 v28, v25, s60                                    // 000000008594: D29D001C 00007919
	s_mov_b32 s61, 0                                           // 00000000859C: BEBD0080
	v_add_i32 v29, v28, s61                                    // 0000000085A0: D29C001D 00007B1C
	v_cmp_gt_i32_e64 s[70:71], v29, 0                          // 0000000085A8: D0C40046 0001011D
	v_cmp_gt_i32_e64 s[96:97], v29, 1                          // 0000000085B0: D0C40060 0001031D
	v_cndmask_b32_e64 v48, v48, v151, s[70:71]                 // 0000000085B8: D1000030 011B2F30
	v_cndmask_b32_e64 v49, v49, v151, s[96:97]                 // 0000000085C0: D1000031 01832F31
	v_cmp_gt_i32_e64 s[70:71], v29, 2                          // 0000000085C8: D0C40046 0001051D
	v_cmp_gt_i32_e64 s[96:97], v29, 3                          // 0000000085D0: D0C40060 0001071D
	v_cndmask_b32_e64 v50, v50, v151, s[70:71]                 // 0000000085D8: D1000032 011B2F32
	v_cndmask_b32_e64 v51, v51, v151, s[96:97]                 // 0000000085E0: D1000033 01832F33
	s_mov_b32 s61, 64                                          // 0000000085E8: BEBD00C0
	v_add_i32 v29, v28, s61                                    // 0000000085EC: D29C001D 00007B1C
	v_cmp_gt_i32_e64 s[70:71], v29, 0                          // 0000000085F4: D0C40046 0001011D
	v_cmp_gt_i32_e64 s[96:97], v29, 1                          // 0000000085FC: D0C40060 0001031D
	v_cndmask_b32_e64 v52, v52, v151, s[70:71]                 // 000000008604: D1000034 011B2F34
	v_cndmask_b32_e64 v53, v53, v151, s[96:97]                 // 00000000860C: D1000035 01832F35
	v_cmp_gt_i32_e64 s[70:71], v29, 2                          // 000000008614: D0C40046 0001051D
	v_cmp_gt_i32_e64 s[96:97], v29, 3                          // 00000000861C: D0C40060 0001071D
	v_cndmask_b32_e64 v54, v54, v151, s[70:71]                 // 000000008624: D1000036 011B2F36
	v_cndmask_b32_e64 v55, v55, v151, s[96:97]                 // 00000000862C: D1000037 01832F37
	s_mov_b32 s61, 0x80                                        // 000000008634: BEBD00FF 00000080
	v_add_i32 v29, v28, s61                                    // 00000000863C: D29C001D 00007B1C
	v_cmp_gt_i32_e64 s[70:71], v29, 0                          // 000000008644: D0C40046 0001011D
	v_cmp_gt_i32_e64 s[96:97], v29, 1                          // 00000000864C: D0C40060 0001031D
	v_cndmask_b32_e64 v56, v56, v151, s[70:71]                 // 000000008654: D1000038 011B2F38
	v_cndmask_b32_e64 v57, v57, v151, s[96:97]                 // 00000000865C: D1000039 01832F39
	v_cmp_gt_i32_e64 s[70:71], v29, 2                          // 000000008664: D0C40046 0001051D
	v_cmp_gt_i32_e64 s[96:97], v29, 3                          // 00000000866C: D0C40060 0001071D
	v_cndmask_b32_e64 v58, v58, v151, s[70:71]                 // 000000008674: D100003A 011B2F3A
	v_cndmask_b32_e64 v59, v59, v151, s[96:97]                 // 00000000867C: D100003B 01832F3B

0000000000008684 <label_122B>:
	s_cmp_lt_i32 s100, 0xc0                                    // 000000008684: BF04FF64 000000C0
	s_cbranch_scc0 label_1280                                  // 00000000868C: BF84004D
	s_cmp_le_i32 s100, 64                                      // 000000008690: BF05C064
	s_cbranch_scc1 label_1237                                  // 000000008694: BF850007
	s_cmp_le_i32 s100, 0x80                                    // 000000008698: BF05FF64 00000080
	s_cbranch_scc1 label_124F                                  // 0000000086A0: BF850017
	s_cmp_lt_i32 s100, 0xc0                                    // 0000000086A4: BF04FF64 000000C0
	s_cbranch_scc1 label_1267                                  // 0000000086AC: BF85002C
	s_branch label_1280                                        // 0000000086B0: BF820044

00000000000086b4 <label_1237>:
	s_mov_b32 s60, 0                                           // 0000000086B4: BEBC0080
	v_and_b32_e32 v28, 15, v0                                  // 0000000086B8: 2638008F
	v_add_u32_e64 v28, v28, s60                                // 0000000086BC: D134001C 0000791C
	v_mul_i32_i24_e64 v29, s46, 16                             // 0000000086C4: D106001D 0001202E
	v_add_u32_e32 v28, v28, v29                                // 0000000086CC: 68383B1C
	v_cmp_lt_u32_e64 s[60:61], v28, s100                       // 0000000086D0: D0C9003C 0000C91C
	s_nop 1                                                    // 0000000086D8: BF800001
	v_cndmask_b32_e64 v48, v151, v48, s[60:61]                 // 0000000086DC: D1000030 00F26197
	v_cndmask_b32_e64 v49, v151, v49, s[60:61]                 // 0000000086E4: D1000031 00F26397
	v_cndmask_b32_e64 v50, v151, v50, s[60:61]                 // 0000000086EC: D1000032 00F26597
	v_cndmask_b32_e64 v51, v151, v51, s[60:61]                 // 0000000086F4: D1000033 00F26797
	s_branch label_1262                                        // 0000000086FC: BF820013

0000000000008700 <label_124F>:
	s_mov_b32 s60, 64                                          // 000000008700: BEBC00C0
	v_and_b32_e32 v28, 15, v0                                  // 000000008704: 2638008F
	v_add_u32_e64 v28, v28, s60                                // 000000008708: D134001C 0000791C
	v_mul_i32_i24_e64 v29, s46, 16                             // 000000008710: D106001D 0001202E
	v_add_u32_e32 v28, v28, v29                                // 000000008718: 68383B1C
	v_cmp_lt_u32_e64 s[60:61], v28, s100                       // 00000000871C: D0C9003C 0000C91C
	s_nop 1                                                    // 000000008724: BF800001
	v_cndmask_b32_e64 v52, v151, v52, s[60:61]                 // 000000008728: D1000034 00F26997
	v_cndmask_b32_e64 v53, v151, v53, s[60:61]                 // 000000008730: D1000035 00F26B97
	v_cndmask_b32_e64 v54, v151, v54, s[60:61]                 // 000000008738: D1000036 00F26D97
	v_cndmask_b32_e64 v55, v151, v55, s[60:61]                 // 000000008740: D1000037 00F26F97
	s_branch label_127B                                        // 000000008748: BF820019

000000000000874c <label_1262>:
	v_mov_b32_e32 v52, v151                                    // 00000000874C: 7E680397
	v_mov_b32_e32 v53, v151                                    // 000000008750: 7E6A0397
	v_mov_b32_e32 v54, v151                                    // 000000008754: 7E6C0397
	v_mov_b32_e32 v55, v151                                    // 000000008758: 7E6E0397
	s_branch label_127B                                        // 00000000875C: BF820014

0000000000008760 <label_1267>:
	s_mov_b32 s60, 0x80                                        // 000000008760: BEBC00FF 00000080
	v_and_b32_e32 v28, 15, v0                                  // 000000008768: 2638008F
	v_add_u32_e64 v28, v28, s60                                // 00000000876C: D134001C 0000791C
	v_mul_i32_i24_e64 v29, s46, 16                             // 000000008774: D106001D 0001202E
	v_add_u32_e32 v28, v28, v29                                // 00000000877C: 68383B1C
	v_cmp_lt_u32_e64 s[60:61], v28, s100                       // 000000008780: D0C9003C 0000C91C
	s_nop 1                                                    // 000000008788: BF800001
	v_cndmask_b32_e64 v56, v151, v56, s[60:61]                 // 00000000878C: D1000038 00F27197
	v_cndmask_b32_e64 v57, v151, v57, s[60:61]                 // 000000008794: D1000039 00F27397
	v_cndmask_b32_e64 v58, v151, v58, s[60:61]                 // 00000000879C: D100003A 00F27597
	v_cndmask_b32_e64 v59, v151, v59, s[60:61]                 // 0000000087A4: D100003B 00F27797
	s_branch label_1280                                        // 0000000087AC: BF820005

00000000000087b0 <label_127B>:
	v_mov_b32_e32 v56, v151                                    // 0000000087B0: 7E700397
	v_mov_b32_e32 v57, v151                                    // 0000000087B4: 7E720397
	v_mov_b32_e32 v58, v151                                    // 0000000087B8: 7E740397
	v_mov_b32_e32 v59, v151                                    // 0000000087BC: 7E760397
	s_branch label_1280                                        // 0000000087C0: BF820000

00000000000087c4 <label_1280>:
	s_addk_i32 s74, 0x1                                        // 0000000087C4: B74A0001
	s_waitcnt lgkmcnt(8)                                       // 0000000087C8: BF8CC87F
	s_barrier                                                  // 0000000087CC: BF8A0000
	v_mfma_f32_16x16x16_bf16 v[72:75], v[92:93], a[96:97], 0   // 0000000087D0: D3E10048 1202C15C
	v_fma_f32 v48, v48, s57, -v124                             // 0000000087D8: D1CB0030 85F07330
	v_fma_f32 v49, v49, s57, -v125                             // 0000000087E0: D1CB0031 85F47331
	v_fma_f32 v50, v50, s57, -v126                             // 0000000087E8: D1CB0032 85F87332
	v_mfma_f32_16x16x16_bf16 v[72:75], v[94:95], a[98:99], v[72:75]// 0000000087F0: D3E10048 1522C55E
	ds_read_b128 a[144:147], v12 offset:4352                   // 0000000087F8: DBFE1100 9000000C
	ds_read_b128 a[148:151], v12 offset:4864                   // 000000008800: DBFE1300 9400000C
	v_mfma_f32_16x16x16_bf16 v[72:75], v[96:97], a[100:101], v[72:75]// 000000008808: D3E10048 1522C960
	v_fma_f32 v51, v51, s57, -v127                             // 000000008810: D1CB0033 85FC7333
	v_fma_f32 v52, v52, s57, -v124                             // 000000008818: D1CB0034 85F07334
	v_fma_f32 v53, v53, s57, -v125                             // 000000008820: D1CB0035 85F47335
	v_mfma_f32_16x16x16_bf16 v[72:75], v[98:99], a[102:103], v[72:75]// 000000008828: D3E10048 1522CD62
	v_fma_f32 v54, v54, s57, -v126                             // 000000008830: D1CB0036 85F87336
	v_fma_f32 v55, v55, s57, -v127                             // 000000008838: D1CB0037 85FC7337
	v_fma_f32 v56, v56, s57, -v124                             // 000000008840: D1CB0038 85F07338
	v_mfma_f32_16x16x16_bf16 v[72:75], v[100:101], a[104:105], v[72:75]// 000000008848: D3E10048 1522D164
	v_fma_f32 v57, v57, s57, -v125                             // 000000008850: D1CB0039 85F47339
	v_fma_f32 v58, v58, s57, -v126                             // 000000008858: D1CB003A 85F8733A
	v_fma_f32 v59, v59, s57, -v127                             // 000000008860: D1CB003B 85FC733B
	v_mfma_f32_16x16x16_bf16 v[72:75], v[102:103], a[106:107], v[72:75]// 000000008868: D3E10048 1522D566
	ds_read_b128 a[152:155], v12 offset:6528                   // 000000008870: DBFE1980 9800000C
	ds_read_b128 a[156:159], v12 offset:7040                   // 000000008878: DBFE1B80 9C00000C
	v_mfma_f32_16x16x16_bf16 v[72:75], v[104:105], a[108:109], v[72:75]// 000000008880: D3E10048 1522D968
	v_exp_f32_e32 v48, v48                                     // 000000008888: 7E604130
	v_mfma_f32_16x16x16_bf16 v[72:75], v[106:107], a[110:111], v[72:75]// 00000000888C: D3E10048 1522DD6A
	v_exp_f32_e32 v49, v49                                     // 000000008894: 7E624131
	v_mfma_f32_16x16x16_bf16 v[76:79], v[92:93], a[112:113], 0 // 000000008898: D3E1004C 1202E15C
	v_exp_f32_e32 v50, v50                                     // 0000000088A0: 7E644132
	v_mfma_f32_16x16x16_bf16 v[76:79], v[94:95], a[114:115], v[76:79]// 0000000088A4: D3E1004C 1532E55E
	ds_read_b64 v[136:137], v19 offset:24320                   // 0000000088AC: D8EC5F00 88000013
	ds_read_b64 v[138:139], v19 offset:26368                   // 0000000088B4: D8EC6700 8A000013
	v_mfma_f32_16x16x16_bf16 v[76:79], v[96:97], a[116:117], v[76:79]// 0000000088BC: D3E1004C 1532E960
	v_exp_f32_e32 v51, v51                                     // 0000000088C4: 7E664133
	v_mfma_f32_16x16x16_bf16 v[76:79], v[98:99], a[118:119], v[76:79]// 0000000088C8: D3E1004C 1532ED62
	ds_read_b64 v[140:141], v19 offset:28416                   // 0000000088D0: D8EC6F00 8C000013
	ds_read_b64 v[142:143], v19 offset:30464                   // 0000000088D8: D8EC7700 8E000013
	v_mfma_f32_16x16x16_bf16 v[76:79], v[100:101], a[120:121], v[76:79]// 0000000088E0: D3E1004C 1532F164
	v_exp_f32_e32 v52, v52                                     // 0000000088E8: 7E684134
	v_mfma_f32_16x16x16_bf16 v[76:79], v[102:103], a[122:123], v[76:79]// 0000000088EC: D3E1004C 1532F566
	v_exp_f32_e32 v53, v53                                     // 0000000088F4: 7E6A4135
	v_mfma_f32_16x16x16_bf16 v[76:79], v[104:105], a[124:125], v[76:79]// 0000000088F8: D3E1004C 1532F968
	v_exp_f32_e32 v54, v54                                     // 000000008900: 7E6C4136
	v_mfma_f32_16x16x16_bf16 v[76:79], v[106:107], a[126:127], v[76:79]// 000000008904: D3E1004C 1532FD6A
	v_exp_f32_e32 v55, v55                                     // 00000000890C: 7E6E4137
	v_mfma_f32_16x16x16_bf16 v[80:83], v[92:93], a[128:129], 0 // 000000008910: D3E10050 1203015C
	v_exp_f32_e32 v56, v56                                     // 000000008918: 7E704138
	v_mfma_f32_16x16x16_bf16 v[80:83], v[94:95], a[130:131], v[80:83]// 00000000891C: D3E10050 1543055E
	v_exp_f32_e32 v57, v57                                     // 000000008924: 7E724139
	v_mfma_f32_16x16x16_bf16 v[80:83], v[96:97], a[132:133], v[80:83]// 000000008928: D3E10050 15430960
	v_exp_f32_e32 v58, v58                                     // 000000008930: 7E74413A
	v_mfma_f32_16x16x16_bf16 v[80:83], v[98:99], a[134:135], v[80:83]// 000000008934: D3E10050 15430D62
	v_exp_f32_e32 v59, v59                                     // 00000000893C: 7E76413B
	v_mfma_f32_16x16x16_bf16 v[80:83], v[100:101], a[136:137], v[80:83]// 000000008940: D3E10050 15431164
	v_cmp_u_f32_e64 s[78:79], v48, v48                         // 000000008948: D048004E 00026130
	v_add3_u32 v248, v48, v251, 1                              // 000000008950: D1FF00F8 0207F730
	v_cndmask_b32_e64 v28, v248, v250, s[78:79]                // 000000008958: D100001C 013BF5F8
	v_cmp_u_f32_e64 s[78:79], v49, v49                         // 000000008960: D048004E 00026331
	v_add3_u32 v248, v49, v251, 1                              // 000000008968: D1FF00F8 0207F731
	v_cndmask_b32_e64 v29, v248, v250, s[78:79]                // 000000008970: D100001D 013BF5F8
	v_perm_b32 v144, v29, v28, s64                             // 000000008978: D1ED0090 0102391D
	v_cmp_u_f32_e64 s[78:79], v50, v50                         // 000000008980: D048004E 00026532
	v_add3_u32 v248, v50, v251, 1                              // 000000008988: D1FF00F8 0207F732
	v_cndmask_b32_e64 v28, v248, v250, s[78:79]                // 000000008990: D100001C 013BF5F8
	v_cmp_u_f32_e64 s[78:79], v51, v51                         // 000000008998: D048004E 00026733
	v_add3_u32 v248, v51, v251, 1                              // 0000000089A0: D1FF00F8 0207F733
	v_cndmask_b32_e64 v29, v248, v250, s[78:79]                // 0000000089A8: D100001D 013BF5F8
	v_perm_b32 v145, v29, v28, s64                             // 0000000089B0: D1ED0091 0102391D
	v_cmp_u_f32_e64 s[78:79], v52, v52                         // 0000000089B8: D048004E 00026934
	v_add3_u32 v248, v52, v251, 1                              // 0000000089C0: D1FF00F8 0207F734
	v_cndmask_b32_e64 v28, v248, v250, s[78:79]                // 0000000089C8: D100001C 013BF5F8
	v_cmp_u_f32_e64 s[78:79], v53, v53                         // 0000000089D0: D048004E 00026B35
	v_add3_u32 v248, v53, v251, 1                              // 0000000089D8: D1FF00F8 0207F735
	v_cndmask_b32_e64 v29, v248, v250, s[78:79]                // 0000000089E0: D100001D 013BF5F8
	v_perm_b32 v146, v29, v28, s64                             // 0000000089E8: D1ED0092 0102391D
	v_mfma_f32_16x16x16_bf16 v[80:83], v[102:103], a[138:139], v[80:83]// 0000000089F0: D3E10050 15431566
	v_cmp_u_f32_e64 s[78:79], v54, v54                         // 0000000089F8: D048004E 00026D36
	v_add3_u32 v248, v54, v251, 1                              // 000000008A00: D1FF00F8 0207F736
	v_cndmask_b32_e64 v28, v248, v250, s[78:79]                // 000000008A08: D100001C 013BF5F8
	v_cmp_u_f32_e64 s[78:79], v55, v55                         // 000000008A10: D048004E 00026F37
	v_add3_u32 v248, v55, v251, 1                              // 000000008A18: D1FF00F8 0207F737
	v_cndmask_b32_e64 v29, v248, v250, s[78:79]                // 000000008A20: D100001D 013BF5F8
	v_perm_b32 v147, v29, v28, s64                             // 000000008A28: D1ED0093 0102391D
	v_cmp_u_f32_e64 s[78:79], v56, v56                         // 000000008A30: D048004E 00027138
	v_add3_u32 v248, v56, v251, 1                              // 000000008A38: D1FF00F8 0207F738
	v_cndmask_b32_e64 v28, v248, v250, s[78:79]                // 000000008A40: D100001C 013BF5F8
	v_cmp_u_f32_e64 s[78:79], v57, v57                         // 000000008A48: D048004E 00027339
	v_add3_u32 v248, v57, v251, 1                              // 000000008A50: D1FF00F8 0207F739
	v_cndmask_b32_e64 v29, v248, v250, s[78:79]                // 000000008A58: D100001D 013BF5F8
	v_perm_b32 v148, v29, v28, s64                             // 000000008A60: D1ED0094 0102391D
	v_cmp_u_f32_e64 s[78:79], v58, v58                         // 000000008A68: D048004E 0002753A
	v_add3_u32 v248, v58, v251, 1                              // 000000008A70: D1FF00F8 0207F73A
	v_cndmask_b32_e64 v28, v248, v250, s[78:79]                // 000000008A78: D100001C 013BF5F8
	v_cmp_u_f32_e64 s[78:79], v59, v59                         // 000000008A80: D048004E 0002773B
	v_add3_u32 v248, v59, v251, 1                              // 000000008A88: D1FF00F8 0207F73B
	v_cndmask_b32_e64 v29, v248, v250, s[78:79]                // 000000008A90: D100001D 013BF5F8
	v_perm_b32 v149, v29, v28, s64                             // 000000008A98: D1ED0095 0102391D
	v_mfma_f32_16x16x16_bf16 v[80:83], v[104:105], a[140:141], v[80:83]// 000000008AA0: D3E10050 15431968
	v_add_u32_e32 v7, s66, v7                                  // 000000008AA8: 680E0E42
	v_add_u32_e32 v8, s66, v8                                  // 000000008AAC: 68101042
	v_mfma_f32_16x16x16_bf16 v[80:83], v[106:107], a[142:143], v[80:83]// 000000008AB0: D3E10050 15431D6A
	s_waitcnt lgkmcnt(0)                                       // 000000008AB8: BF8CC07F
	s_barrier                                                  // 000000008ABC: BF8A0000
	v_mfma_f32_16x16x16_bf16 v[152:155], v[108:109], v[144:145], v[152:155]// 000000008AC0: D3E10098 0663216C
	v_subrev_f32_dpp v72, v150, v72 quad_perm:[0,0,0,0] row_mask:0xf bank_mask:0xf// 000000008AC8: 069090FA FF000096
	v_subrev_f32_dpp v73, v150, v73 quad_perm:[1,1,1,1] row_mask:0xf bank_mask:0xf// 000000008AD0: 069292FA FF005596
	v_subrev_f32_dpp v74, v150, v74 quad_perm:[2,2,2,2] row_mask:0xf bank_mask:0xf// 000000008AD8: 069494FA FF00AA96
	v_mfma_f32_16x16x16_bf16 v[156:159], v[110:111], v[144:145], v[156:159]// 000000008AE0: D3E1009C 0673216E
	v_subrev_f32_dpp v75, v150, v75 quad_perm:[3,3,3,3] row_mask:0xf bank_mask:0xf// 000000008AE8: 069696FA FF00FF96
	v_subrev_f32_dpp v76, v150, v76 quad_perm:[0,0,0,0] row_mask:0xf bank_mask:0xf// 000000008AF0: 069898FA FF000096
	v_subrev_f32_dpp v77, v150, v77 quad_perm:[1,1,1,1] row_mask:0xf bank_mask:0xf// 000000008AF8: 069A9AFA FF005596
	v_mfma_f32_16x16x16_bf16 v[160:163], v[112:113], v[144:145], v[160:163]// 000000008B00: D3E100A0 06832170
	v_mul_f32_e32 v72, v48, v72                                // 000000008B08: 0A909130
	v_mul_f32_e32 v73, v49, v73                                // 000000008B0C: 0A929331
	v_mul_f32_e32 v74, v50, v74                                // 000000008B10: 0A949532
	v_mfma_f32_16x16x16_bf16 v[164:167], v[114:115], v[144:145], v[164:167]// 000000008B14: D3E100A4 06932172
	v_mul_f32_e32 v75, v51, v75                                // 000000008B1C: 0A969733
	v_mul_f32_e32 v76, v52, v76                                // 000000008B20: 0A989934
	v_mul_f32_e32 v77, v53, v77                                // 000000008B24: 0A9A9B35
	v_mfma_f32_16x16x16_bf16 v[168:171], v[116:117], v[144:145], v[168:171]// 000000008B28: D3E100A8 06A32174
	v_cmp_u_f32_e64 s[78:79], v72, v72                         // 000000008B30: D048004E 00029148
	v_add3_u32 v248, v72, v251, 1                              // 000000008B38: D1FF00F8 0207F748
	v_cndmask_b32_e64 v28, v248, v250, s[78:79]                // 000000008B40: D100001C 013BF5F8
	v_cmp_u_f32_e64 s[78:79], v73, v73                         // 000000008B48: D048004E 00029349
	v_add3_u32 v248, v73, v251, 1                              // 000000008B50: D1FF00F8 0207F749
	v_cndmask_b32_e64 v29, v248, v250, s[78:79]                // 000000008B58: D100001D 013BF5F8
	v_perm_b32 v72, v29, v28, s64                              // 000000008B60: D1ED0048 0102391D
	v_cmp_u_f32_e64 s[78:79], v74, v74                         // 000000008B68: D048004E 0002954A
	v_add3_u32 v248, v74, v251, 1                              // 000000008B70: D1FF00F8 0207F74A
	v_cndmask_b32_e64 v28, v248, v250, s[78:79]                // 000000008B78: D100001C 013BF5F8
	v_cmp_u_f32_e64 s[78:79], v75, v75                         // 000000008B80: D048004E 0002974B
	v_add3_u32 v248, v75, v251, 1                              // 000000008B88: D1FF00F8 0207F74B
	v_cndmask_b32_e64 v29, v248, v250, s[78:79]                // 000000008B90: D100001D 013BF5F8
	v_perm_b32 v73, v29, v28, s64                              // 000000008B98: D1ED0049 0102391D
	v_cmp_u_f32_e64 s[78:79], v76, v76                         // 000000008BA0: D048004E 0002994C
	v_add3_u32 v248, v76, v251, 1                              // 000000008BA8: D1FF00F8 0207F74C
	v_cndmask_b32_e64 v28, v248, v250, s[78:79]                // 000000008BB0: D100001C 013BF5F8
	v_cmp_u_f32_e64 s[78:79], v77, v77                         // 000000008BB8: D048004E 00029B4D
	v_add3_u32 v248, v77, v251, 1                              // 000000008BC0: D1FF00F8 0207F74D
	v_cndmask_b32_e64 v29, v248, v250, s[78:79]                // 000000008BC8: D100001D 013BF5F8
	v_perm_b32 v74, v29, v28, s64                              // 000000008BD0: D1ED004A 0102391D
	v_mfma_f32_16x16x16_bf16 v[172:175], v[118:119], v[144:145], v[172:175]// 000000008BD8: D3E100AC 06B32176
	v_mov_b32_dpp v16, v72 quad_perm:[1,0,3,2] row_mask:0xf bank_mask:0xf// 000000008BE0: 7E2002FA FF00B148
	v_perm_b32 v48, v16, v72, v15                              // 000000008BE8: D1ED0030 043E9110
	v_mov_b32_dpp v16, v73 quad_perm:[1,0,3,2] row_mask:0xf bank_mask:0xf// 000000008BF0: 7E2002FA FF00B149
	v_mfma_f32_16x16x16_bf16 v[176:179], v[120:121], v[144:145], v[176:179]// 000000008BF8: D3E100B0 06C32178
	ds_write_b32 v18, v48 offset:17408                         // 000000008C00: D81A4400 00003012
	v_mfma_f32_16x16x16_bf16 v[180:183], v[122:123], v[144:145], v[180:183]// 000000008C08: D3E100B4 06D3217A
	v_perm_b32 v49, v16, v73, v15                              // 000000008C10: D1ED0031 043E9310
	v_mov_b32_dpp v16, v74 quad_perm:[1,0,3,2] row_mask:0xf bank_mask:0xf// 000000008C18: 7E2002FA FF00B14A
	v_perm_b32 v50, v16, v74, v15                              // 000000008C20: D1ED0032 043E9510
	v_mfma_f32_16x16x16_bf16 v[184:187], v[108:109], v[146:147], v[184:187]// 000000008C28: D3E100B8 06E3256C
	ds_write_b32 v18, v49 offset:17952                         // 000000008C30: D81A4620 00003112
	v_mfma_f32_16x16x16_bf16 v[188:191], v[110:111], v[146:147], v[188:191]// 000000008C38: D3E100BC 06F3256E
	v_subrev_f32_dpp v78, v150, v78 quad_perm:[2,2,2,2] row_mask:0xf bank_mask:0xf// 000000008C40: 069C9CFA FF00AA96
	v_subrev_f32_dpp v79, v150, v79 quad_perm:[3,3,3,3] row_mask:0xf bank_mask:0xf// 000000008C48: 069E9EFA FF00FF96
	v_subrev_f32_dpp v80, v150, v80 quad_perm:[0,0,0,0] row_mask:0xf bank_mask:0xf// 000000008C50: 06A0A0FA FF000096
	v_mfma_f32_16x16x16_bf16 v[192:195], v[112:113], v[146:147], v[192:195]// 000000008C58: D3E100C0 07032570
	ds_write_b32 v18, v50 offset:19712                         // 000000008C60: D81A4D00 00003212
	v_mfma_f32_16x16x16_bf16 v[196:199], v[114:115], v[146:147], v[196:199]// 000000008C68: D3E100C4 07132572
	v_subrev_f32_dpp v81, v150, v81 quad_perm:[1,1,1,1] row_mask:0xf bank_mask:0xf// 000000008C70: 06A2A2FA FF005596
	v_subrev_f32_dpp v82, v150, v82 quad_perm:[2,2,2,2] row_mask:0xf bank_mask:0xf// 000000008C78: 06A4A4FA FF00AA96
	v_subrev_f32_dpp v83, v150, v83 quad_perm:[3,3,3,3] row_mask:0xf bank_mask:0xf// 000000008C80: 06A6A6FA FF00FF96
	v_mfma_f32_16x16x16_bf16 v[200:203], v[116:117], v[146:147], v[200:203]// 000000008C88: D3E100C8 07232574
	v_mul_f32_e32 v78, v54, v78                                // 000000008C90: 0A9C9D36
	v_mul_f32_e32 v79, v55, v79                                // 000000008C94: 0A9E9F37
	v_mul_f32_e32 v80, v56, v80                                // 000000008C98: 0AA0A138
	v_mfma_f32_16x16x16_bf16 v[204:207], v[118:119], v[146:147], v[204:207]// 000000008C9C: D3E100CC 07332576
	v_mul_f32_e32 v81, v57, v81                                // 000000008CA4: 0AA2A339
	v_mul_f32_e32 v82, v58, v82                                // 000000008CA8: 0AA4A53A
	v_mul_f32_e32 v83, v59, v83                                // 000000008CAC: 0AA6A73B
	v_mfma_f32_16x16x16_bf16 v[208:211], v[120:121], v[146:147], v[208:211]// 000000008CB0: D3E100D0 07432578
	v_cmp_u_f32_e64 s[78:79], v78, v78                         // 000000008CB8: D048004E 00029D4E
	v_add3_u32 v248, v78, v251, 1                              // 000000008CC0: D1FF00F8 0207F74E
	v_cndmask_b32_e64 v28, v248, v250, s[78:79]                // 000000008CC8: D100001C 013BF5F8
	v_cmp_u_f32_e64 s[78:79], v79, v79                         // 000000008CD0: D048004E 00029F4F
	v_add3_u32 v248, v79, v251, 1                              // 000000008CD8: D1FF00F8 0207F74F
	v_cndmask_b32_e64 v29, v248, v250, s[78:79]                // 000000008CE0: D100001D 013BF5F8
	v_perm_b32 v75, v29, v28, s64                              // 000000008CE8: D1ED004B 0102391D
	v_cmp_u_f32_e64 s[78:79], v80, v80                         // 000000008CF0: D048004E 0002A150
	v_add3_u32 v248, v80, v251, 1                              // 000000008CF8: D1FF00F8 0207F750
	v_cndmask_b32_e64 v28, v248, v250, s[78:79]                // 000000008D00: D100001C 013BF5F8
	v_cmp_u_f32_e64 s[78:79], v81, v81                         // 000000008D08: D048004E 0002A351
	v_add3_u32 v248, v81, v251, 1                              // 000000008D10: D1FF00F8 0207F751
	v_cndmask_b32_e64 v29, v248, v250, s[78:79]                // 000000008D18: D100001D 013BF5F8
	v_perm_b32 v76, v29, v28, s64                              // 000000008D20: D1ED004C 0102391D
	v_cmp_u_f32_e64 s[78:79], v82, v82                         // 000000008D28: D048004E 0002A552
	v_add3_u32 v248, v82, v251, 1                              // 000000008D30: D1FF00F8 0207F752
	v_cndmask_b32_e64 v28, v248, v250, s[78:79]                // 000000008D38: D100001C 013BF5F8
	v_cmp_u_f32_e64 s[78:79], v83, v83                         // 000000008D40: D048004E 0002A753
	v_add3_u32 v248, v83, v251, 1                              // 000000008D48: D1FF00F8 0207F753
	v_cndmask_b32_e64 v29, v248, v250, s[78:79]                // 000000008D50: D100001D 013BF5F8
	v_perm_b32 v77, v29, v28, s64                              // 000000008D58: D1ED004D 0102391D
	v_mfma_f32_16x16x16_bf16 v[212:215], v[122:123], v[146:147], v[212:215]// 000000008D60: D3E100D4 0753257A
	v_mov_b32_dpp v16, v75 quad_perm:[1,0,3,2] row_mask:0xf bank_mask:0xf// 000000008D68: 7E2002FA FF00B14B
	v_perm_b32 v51, v16, v75, v15                              // 000000008D70: D1ED0033 043E9710
	v_mov_b32_dpp v16, v76 quad_perm:[1,0,3,2] row_mask:0xf bank_mask:0xf// 000000008D78: 7E2002FA FF00B14C
	v_mfma_f32_16x16x16_bf16 v[216:219], v[108:109], v[148:149], v[216:219]// 000000008D80: D3E100D8 0763296C
	ds_write_b32 v18, v51 offset:20256                         // 000000008D88: D81A4F20 00003312
	v_mfma_f32_16x16x16_bf16 v[220:223], v[110:111], v[148:149], v[220:223]// 000000008D90: D3E100DC 0773296E
	v_perm_b32 v52, v16, v76, v15                              // 000000008D98: D1ED0034 043E9910
	v_mov_b32_dpp v16, v77 quad_perm:[1,0,3,2] row_mask:0xf bank_mask:0xf// 000000008DA0: 7E2002FA FF00B14D
	v_perm_b32 v53, v16, v77, v15                              // 000000008DA8: D1ED0035 043E9B10
	v_mfma_f32_16x16x16_bf16 v[224:227], v[112:113], v[148:149], v[224:227]// 000000008DB0: D3E100E0 07832970
	ds_write_b32 v18, v52 offset:22016                         // 000000008DB8: D81A5600 00003412
	ds_write_b32 v18, v53 offset:22560                         // 000000008DC0: D81A5820 00003512
	v_mfma_f32_16x16x16_bf16 v[228:231], v[114:115], v[148:149], v[228:231]// 000000008DC8: D3E100E4 07932972
	v_mfma_f32_16x16x16_bf16 v[232:235], v[116:117], v[148:149], v[232:235]// 000000008DD0: D3E100E8 07A32974
	ds_write_b32 v13, v84 offset:4352                          // 000000008DD8: D81A1100 0000540D
	ds_write_b32 v13, v85 offset:5408                          // 000000008DE0: D81A1520 0000550D
	v_mfma_f32_16x16x16_bf16 v[236:239], v[118:119], v[148:149], v[236:239]// 000000008DE8: D3E100EC 07B32976
	v_mfma_f32_16x16x16_bf16 v[240:243], v[120:121], v[148:149], v[240:243]// 000000008DF0: D3E100F0 07C32978
	ds_write_b32 v13, v86 offset:4480                          // 000000008DF8: D81A1180 0000560D
	ds_write_b32 v13, v87 offset:5536                          // 000000008E00: D81A15A0 0000570D
	v_mfma_f32_16x16x16_bf16 v[244:247], v[122:123], v[148:149], v[244:247]// 000000008E08: D3E100F4 07D3297A
	s_nop 0                                                    // 000000008E10: BF800000
	s_nop 0                                                    // 000000008E14: BF800000
	s_nop 0                                                    // 000000008E18: BF800000
	s_barrier                                                  // 000000008E1C: BF8A0000
	v_mfma_f32_16x16x16_bf16 a[160:163], a[144:145], v[72:73], a[160:163]// 000000008E20: D3E180A0 0E829190
	ds_read_b32 v124, v21 offset:51200                         // 000000008E28: D86CC800 7C000015
	ds_read_b32 v150, v21 offset:51456                         // 000000008E30: D86CC900 96000015
	v_mfma_f32_16x16x16_bf16 a[164:167], a[146:147], v[72:73], a[164:167]// 000000008E38: D3E180A4 0E929192
	buffer_atomic_add_f32 v136, v7, s[32:35], 0 offen          // 000000008E40: E1341000 80088807
	v_mfma_f32_16x16x16_bf16 a[168:171], a[148:149], v[72:73], a[168:171]// 000000008E48: D3E180A8 0EA29194
	s_waitcnt lgkmcnt(6)                                       // 000000008E50: BF8CC67F
	s_barrier                                                  // 000000008E54: BF8A0000
	v_mfma_f32_16x16x16_bf16 a[172:175], a[150:151], v[72:73], a[172:175]// 000000008E58: D3E180AC 0EB29196
	v_mfma_f32_16x16x16_bf16 a[176:179], a[152:153], v[72:73], a[176:179]// 000000008E60: D3E180B0 0EC29198
	ds_read_b128 v[48:51], v17 offset:17408                    // 000000008E68: D9FE4400 30000011
	v_mfma_f32_16x16x16_bf16 a[180:183], a[154:155], v[72:73], a[180:183]// 000000008E70: D3E180B4 0ED2919A
	v_mfma_f32_16x16x16_bf16 a[184:187], a[156:157], v[72:73], a[184:187]// 000000008E78: D3E180B8 0EE2919C
	ds_read_b128 v[52:55], v17 offset:18560                    // 000000008E80: D9FE4880 34000011
	v_mfma_f32_16x16x16_bf16 a[188:191], a[158:159], v[72:73], a[188:191]// 000000008E88: D3E180BC 0EF2919E
	buffer_atomic_add_f32 v137, v8, s[32:35], 0 offen          // 000000008E90: E1341000 80088908
	v_mfma_f32_16x16x16_bf16 a[192:195], a[144:145], v[74:75], a[192:195]// 000000008E98: D3E180C0 0F029590
	ds_read_b128 v[56:59], v17 offset:19712                    // 000000008EA0: D9FE4D00 38000011
	v_mfma_f32_16x16x16_bf16 a[196:199], a[146:147], v[74:75], a[196:199]// 000000008EA8: D3E180C4 0F129592
	v_mfma_f32_16x16x16_bf16 a[200:203], a[148:149], v[74:75], a[200:203]// 000000008EB0: D3E180C8 0F229594
	ds_read_b128 v[60:63], v17 offset:20864                    // 000000008EB8: D9FE5180 3C000011
	v_mfma_f32_16x16x16_bf16 a[204:207], a[150:151], v[74:75], a[204:207]// 000000008EC0: D3E180CC 0F329596
	v_mfma_f32_16x16x16_bf16 a[208:211], a[152:153], v[74:75], a[208:211]// 000000008EC8: D3E180D0 0F429598
	ds_read_b128 v[64:67], v17 offset:22016                    // 000000008ED0: D9FE5600 40000011
	v_mfma_f32_16x16x16_bf16 a[212:215], a[154:155], v[74:75], a[212:215]// 000000008ED8: D3E180D4 0F52959A
	buffer_atomic_add_f32 v138, v7, s[32:35], 0 offen offset:128// 000000008EE0: E1341080 80088A07
	v_mfma_f32_16x16x16_bf16 a[216:219], a[156:157], v[74:75], a[216:219]// 000000008EE8: D3E180D8 0F62959C
	ds_read_b128 v[68:71], v17 offset:23168                    // 000000008EF0: D9FE5A80 44000011
	v_mfma_f32_16x16x16_bf16 a[220:223], a[158:159], v[74:75], a[220:223]// 000000008EF8: D3E180DC 0F72959E
	v_mfma_f32_16x16x16_bf16 a[224:227], a[144:145], v[76:77], a[224:227]// 000000008F00: D3E180E0 0F829990
	ds_write_b32 v13, v88 offset:13056                         // 000000008F08: D81A3300 0000580D
	v_mfma_f32_16x16x16_bf16 a[228:231], a[146:147], v[76:77], a[228:231]// 000000008F10: D3E180E4 0F929992
	v_mfma_f32_16x16x16_bf16 a[232:235], a[148:149], v[76:77], a[232:235]// 000000008F18: D3E180E8 0FA29994
	ds_write_b32 v13, v89 offset:14112                         // 000000008F20: D81A3720 0000590D
	v_mfma_f32_16x16x16_bf16 a[236:239], a[150:151], v[76:77], a[236:239]// 000000008F28: D3E180EC 0FB29996
	buffer_atomic_add_f32 v139, v8, s[32:35], 0 offen offset:128// 000000008F30: E1341080 80088B08
	v_mfma_f32_16x16x16_bf16 a[240:243], a[152:153], v[76:77], a[240:243]// 000000008F38: D3E180F0 0FC29998
	ds_write_b32 v13, v90 offset:13184                         // 000000008F40: D81A3380 00005A0D
	v_mfma_f32_16x16x16_bf16 a[244:247], a[154:155], v[76:77], a[244:247]// 000000008F48: D3E180F4 0FD2999A
	v_mfma_f32_16x16x16_bf16 a[248:251], a[156:157], v[76:77], a[248:251]// 000000008F50: D3E180F8 0FE2999C
	ds_write_b32 v13, v91 offset:14240                         // 000000008F58: D81A37A0 00005B0D
	v_mfma_f32_16x16x16_bf16 a[252:255], a[158:159], v[76:77], a[252:255]// 000000008F60: D3E180FC 0FF2999E
	s_waitcnt vmcnt(8) lgkmcnt(4)                              // 000000008F68: BF8C0478
	s_barrier                                                  // 000000008F6C: BF8A0000
	v_mfma_f32_16x16x16_bf16 v[128:131], v[48:49], a[48:49], 0 // 000000008F70: D3E10080 12026130
	ds_read_b128 a[144:147], v10                               // 000000008F78: DBFE0000 9000000A
	v_mov_b32_e32 v36, 0                                       // 000000008F80: 7E480280
	s_mov_b64 exec, s[90:91]                                   // 000000008F84: BEFE015A
	buffer_load_dword v36, v1, s[8:11], 0 idxen                // 000000008F88: E0502000 80022401
	s_mov_b32 exec_lo, -1                                      // 000000008F90: BEFE00C1
	s_mov_b32 exec_hi, -1                                      // 000000008F94: BEFF00C1
	v_mfma_f32_16x16x16_bf16 v[128:131], v[50:51], a[52:53], v[128:131]// 000000008F98: D3E10080 16026932
	v_mul_f32_e32 v124, s48, v124                              // 000000008FA0: 0AF8F830
	s_nop 0                                                    // 000000008FA4: BF800000
	v_mfma_f32_16x16x16_bf16 v[128:131], v[52:53], a[56:57], v[128:131]// 000000008FA8: D3E10080 16027134
	ds_read_b128 a[148:151], v10 offset:512                    // 000000008FB0: DBFE0200 9400000A
	v_mov_b32_e32 v37, 0                                       // 000000008FB8: 7E4A0280
	s_mov_b64 exec, s[90:91]                                   // 000000008FBC: BEFE015A
	buffer_load_dword v37, v2, s[8:11], 0 idxen                // 000000008FC0: E0502000 80022502
	s_mov_b32 exec_lo, -1                                      // 000000008FC8: BEFE00C1
	s_mov_b32 exec_hi, -1                                      // 000000008FCC: BEFF00C1
	v_mfma_f32_16x16x16_bf16 v[128:131], v[54:55], a[60:61], v[128:131]// 000000008FD0: D3E10080 16027936
	v_mfma_f32_16x16x16_bf16 v[128:131], v[56:57], a[64:65], v[128:131]// 000000008FD8: D3E10080 16028138
	ds_read_b128 a[152:155], v10 offset:2176                   // 000000008FE0: DBFE0880 9800000A
	v_mov_b32_e32 v38, 0                                       // 000000008FE8: 7E4C0280
	s_mov_b64 exec, s[90:91]                                   // 000000008FEC: BEFE015A
	buffer_load_dword v38, v3, s[8:11], 0 idxen                // 000000008FF0: E0502000 80022603
	s_mov_b32 exec_lo, -1                                      // 000000008FF8: BEFE00C1
	s_mov_b32 exec_hi, -1                                      // 000000008FFC: BEFF00C1
	v_mfma_f32_16x16x16_bf16 v[128:131], v[58:59], a[68:69], v[128:131]// 000000009000: D3E10080 1602893A
	v_perm_b32 v84, v33, v32, s63                              // 000000009008: D1ED0054 00FE4121
	v_perm_b32 v85, v33, v32, s64                              // 000000009010: D1ED0055 01024121
	v_mfma_f32_16x16x16_bf16 v[128:131], v[60:61], a[72:73], v[128:131]// 000000009018: D3E10080 1602913C
	ds_read_b128 a[156:159], v10 offset:2688                   // 000000009020: DBFE0A80 9C00000A
	v_mov_b32_e32 v39, 0                                       // 000000009028: 7E4E0280
	s_mov_b64 exec, s[90:91]                                   // 00000000902C: BEFE015A
	buffer_load_dword v39, v4, s[8:11], 0 idxen                // 000000009030: E0502000 80022704
	s_mov_b32 exec_lo, -1                                      // 000000009038: BEFE00C1
	s_mov_b32 exec_hi, -1                                      // 00000000903C: BEFF00C1
	v_mfma_f32_16x16x16_bf16 v[128:131], v[62:63], a[76:77], v[128:131]// 000000009040: D3E10080 1602993E
	v_perm_b32 v86, v35, v34, s63                              // 000000009048: D1ED0056 00FE4523
	v_perm_b32 v87, v35, v34, s64                              // 000000009050: D1ED0057 01024523
	v_mfma_f32_16x16x16_bf16 v[128:131], v[64:65], a[80:81], v[128:131]// 000000009058: D3E10080 1602A140
	ds_read_b128 v[92:95], v10 offset:8704                     // 000000009060: D9FE2200 5C00000A
	v_mov_b32_e32 v44, 0                                       // 000000009068: 7E580280
	s_mov_b64 exec, s[90:91]                                   // 00000000906C: BEFE015A
	buffer_load_dword v44, v252, s[20:23], 0 idxen             // 000000009070: E0502000 80052CFC
	s_mov_b32 exec_lo, -1                                      // 000000009078: BEFE00C1
	s_mov_b32 exec_hi, -1                                      // 00000000907C: BEFF00C1
	v_mfma_f32_16x16x16_bf16 v[128:131], v[66:67], a[84:85], v[128:131]// 000000009080: D3E10080 1602A942
	v_perm_b32 v88, v41, v40, s63                              // 000000009088: D1ED0058 00FE5129
	v_perm_b32 v89, v41, v40, s64                              // 000000009090: D1ED0059 01025129
	v_mfma_f32_16x16x16_bf16 v[128:131], v[68:69], a[88:89], v[128:131]// 000000009098: D3E10080 1602B144
	ds_read_b128 v[96:99], v10 offset:9216                     // 0000000090A0: D9FE2400 6000000A
	v_mov_b32_e32 v45, 0                                       // 0000000090A8: 7E5A0280
	s_mov_b64 exec, s[90:91]                                   // 0000000090AC: BEFE015A
	buffer_load_dword v45, v253, s[20:23], 0 idxen             // 0000000090B0: E0502000 80052DFD
	s_mov_b32 exec_lo, -1                                      // 0000000090B8: BEFE00C1
	s_mov_b32 exec_hi, -1                                      // 0000000090BC: BEFF00C1
	v_mfma_f32_16x16x16_bf16 v[128:131], v[70:71], a[92:93], v[128:131]// 0000000090C0: D3E10080 1602B946
	v_perm_b32 v90, v43, v42, s63                              // 0000000090C8: D1ED005A 00FE552B
	v_perm_b32 v91, v43, v42, s64                              // 0000000090D0: D1ED005B 0102552B
	v_mfma_f32_16x16x16_bf16 v[132:135], v[48:49], a[50:51], 0 // 0000000090D8: D3E10084 12026530
	ds_read_b128 v[100:103], v10 offset:10880                  // 0000000090E0: D9FE2A80 6400000A
	v_mov_b32_e32 v46, 0                                       // 0000000090E8: 7E5C0280
	s_mov_b64 exec, s[90:91]                                   // 0000000090EC: BEFE015A
	buffer_load_dword v46, v254, s[20:23], 0 idxen             // 0000000090F0: E0502000 80052EFE
	s_mov_b32 exec_lo, -1                                      // 0000000090F8: BEFE00C1
	s_mov_b32 exec_hi, -1                                      // 0000000090FC: BEFF00C1
	v_mfma_f32_16x16x16_bf16 v[132:135], v[50:51], a[54:55], v[132:135]// 000000009100: D3E10084 16126D32
	v_mov_b32_dpp v127, v124 quad_perm:[3,3,3,3] row_mask:0xf bank_mask:0xf// 000000009108: 7EFE02FA FF00FF7C
	v_mov_b32_dpp v126, v124 quad_perm:[2,2,2,2] row_mask:0xf bank_mask:0xf// 000000009110: 7EFC02FA FF00AA7C
	v_mfma_f32_16x16x16_bf16 v[132:135], v[52:53], a[58:59], v[132:135]// 000000009118: D3E10084 16127534
	ds_read_b128 v[104:107], v10 offset:11392                  // 000000009120: D9FE2C80 6800000A
	v_mov_b32_e32 v47, 0                                       // 000000009128: 7E5E0280
	s_mov_b64 exec, s[90:91]                                   // 00000000912C: BEFE015A
	buffer_load_dword v47, v255, s[20:23], 0 idxen             // 000000009130: E0502000 80052FFF
	s_mov_b32 exec_lo, -1                                      // 000000009138: BEFE00C1
	s_mov_b32 exec_hi, -1                                      // 00000000913C: BEFF00C1
	v_mfma_f32_16x16x16_bf16 v[132:135], v[54:55], a[62:63], v[132:135]// 000000009140: D3E10084 16127D36
	v_mov_b32_dpp v125, v124 quad_perm:[1,1,1,1] row_mask:0xf bank_mask:0xf// 000000009148: 7EFA02FA FF00557C
	v_mov_b32_dpp v124, v124 quad_perm:[0,0,0,0] row_mask:0xf bank_mask:0xf// 000000009150: 7EF802FA FF00007C
	s_add_u32 s60, 64, s59                                     // 000000009158: 803C3BC0
	v_mfma_f32_16x16x16_bf16 v[132:135], v[56:57], a[66:67], v[132:135]// 00000000915C: D3E10084 16128538
	buffer_load_dword v9, s[24:27], 0 idxen lds                // 000000009164: E0512000 80060009
	v_mfma_f32_16x16x16_bf16 v[132:135], v[58:59], a[70:71], v[132:135]// 00000000916C: D3E10084 16128D3A
	s_cmp_lt_u32 s60, s58                                      // 000000009174: BF0A3A3C
	s_cselect_b32 s68, s68, 0                                  // 000000009178: 85448044
	s_cselect_b32 s99, s99, 0                                  // 00000000917C: 85638063
	s_cselect_b32 s69, s69, 0                                  // 000000009180: 85458045
	v_mfma_f32_16x16x16_bf16 v[132:135], v[60:61], a[74:75], v[132:135]// 000000009184: D3E10084 1612953C
	v_add_u32_e32 v1, s68, v1                                  // 00000000918C: 68020244
	v_add_u32_e32 v2, s68, v2                                  // 000000009190: 68040444
	v_add_u32_e32 v3, s68, v3                                  // 000000009194: 68060644
	v_add_u32_e32 v4, s68, v4                                  // 000000009198: 68080844
	v_mfma_f32_16x16x16_bf16 v[132:135], v[62:63], a[78:79], v[132:135]// 00000000919C: D3E10084 16129D3E
	v_add_u32_e32 v252, s99, v252                              // 0000000091A4: 69F9F863
	v_add_u32_e32 v253, s99, v253                              // 0000000091A8: 69FBFA63
	v_add_u32_e32 v254, s99, v254                              // 0000000091AC: 69FDFC63
	v_add_u32_e32 v255, s99, v255                              // 0000000091B0: 69FFFE63
	v_mfma_f32_16x16x16_bf16 v[132:135], v[64:65], a[82:83], v[132:135]// 0000000091B4: D3E10084 1612A540
	s_mov_b32 m0, s80                                          // 0000000091BC: BEFC0050
	v_add_u32_e32 v9, s69, v9                                  // 0000000091C0: 68121245
	v_mfma_f32_16x16x16_bf16 v[132:135], v[66:67], a[86:87], v[132:135]// 0000000091C4: D3E10084 1612AD42
	s_cmp_ge_u32 s59, s73                                      // 0000000091CC: BF09493B
	s_cselect_b32 s66, s67, s66                                // 0000000091D0: 85424243
	v_mfma_f32_16x16x16_bf16 v[132:135], v[68:69], a[90:91], v[132:135]// 0000000091D4: D3E10084 1612B544
	s_addk_i32 s59, 0x10                                       // 0000000091DC: B73B0010
	s_nop 0                                                    // 0000000091E0: BF800000
	s_cmp_lt_i32 s59, s58                                      // 0000000091E4: BF043A3B
	v_mfma_f32_16x16x16_bf16 v[132:135], v[70:71], a[94:95], v[132:135]// 0000000091E8: D3E10084 1612BD46
	s_cbranch_scc0 label_1185                                  // 0000000091F0: BF84FC7E
	s_waitcnt lgkmcnt(0)                                       // 0000000091F4: BF8CC07F
	s_barrier                                                  // 0000000091F8: BF8A0000
	v_mfma_f32_16x16x16_bf16 v[48:51], a[144:145], a[0:1], 0   // 0000000091FC: D3E10030 1A020190
	v_mul_f32_e32 v128, s47, v128                              // 000000009204: 0B01002F
	v_mul_f32_e32 v129, s47, v129                              // 000000009208: 0B03022F
	v_mfma_f32_16x16x16_bf16 v[48:51], a[146:147], a[2:3], v[48:51]// 00000000920C: D3E10030 1CC20592
	ds_write_b32 v11, v40 offset:8704                          // 000000009214: D81A2200 0000280B
	ds_write_b32 v11, v41 offset:9760                          // 00000000921C: D81A2620 0000290B
	v_mfma_f32_16x16x16_bf16 v[48:51], a[148:149], a[4:5], v[48:51]// 000000009224: D3E10030 1CC20994
	v_mul_f32_e32 v130, s47, v130                              // 00000000922C: 0B05042F
	v_mul_f32_e32 v131, s47, v131                              // 000000009230: 0B07062F
	v_mfma_f32_16x16x16_bf16 v[48:51], a[150:151], a[6:7], v[48:51]// 000000009234: D3E10030 1CC20D96
	ds_write_b32 v11, v42 offset:8832                          // 00000000923C: D81A2280 00002A0B
	ds_write_b32 v11, v43 offset:9888                          // 000000009244: D81A26A0 00002B0B
	v_mfma_f32_16x16x16_bf16 v[48:51], a[152:153], a[8:9], v[48:51]// 00000000924C: D3E10030 1CC21198
	v_mul_f32_e32 v132, s47, v132                              // 000000009254: 0B09082F
	v_mul_f32_e32 v133, s47, v133                              // 000000009258: 0B0B0A2F
	v_mfma_f32_16x16x16_bf16 v[48:51], a[154:155], a[10:11], v[48:51]// 00000000925C: D3E10030 1CC2159A
	ds_write_b64 v20, v[128:129] offset:24320                  // 000000009264: D89A5F00 00008014
	v_mfma_f32_16x16x16_bf16 v[48:51], a[156:157], a[12:13], v[48:51]// 00000000926C: D3E10030 1CC2199C
	v_mul_f32_e32 v134, s47, v134                              // 000000009274: 0B0D0C2F
	v_mul_f32_e32 v135, s47, v135                              // 000000009278: 0B0F0E2F
	v_mfma_f32_16x16x16_bf16 v[48:51], a[158:159], a[14:15], v[48:51]// 00000000927C: D3E10030 1CC21D9E
	ds_write_b64 v20, v[130:131] offset:24832                  // 000000009284: D89A6100 00008214
	v_mfma_f32_16x16x16_bf16 v[52:55], a[144:145], a[16:17], 0 // 00000000928C: D3E10034 1A022190
	buffer_atomic_add_f32 v140, v7, s[32:35], 0 offen offset:256// 000000009294: E1341100 80088C07
	v_mfma_f32_16x16x16_bf16 v[52:55], a[146:147], a[18:19], v[52:55]// 00000000929C: D3E10034 1CD22592
	ds_write_b64 v20, v[132:133] offset:25344                  // 0000000092A4: D89A6300 00008414
	v_mfma_f32_16x16x16_bf16 v[52:55], a[148:149], a[20:21], v[52:55]// 0000000092AC: D3E10034 1CD22994
	v_mfma_f32_16x16x16_bf16 v[52:55], a[150:151], a[22:23], v[52:55]// 0000000092B4: D3E10034 1CD22D96
	ds_write_b64 v20, v[134:135] offset:25856                  // 0000000092BC: D89A6500 00008614
	v_mfma_f32_16x16x16_bf16 v[52:55], a[152:153], a[24:25], v[52:55]// 0000000092C4: D3E10034 1CD23198
	buffer_atomic_add_f32 v141, v8, s[32:35], 0 offen offset:256// 0000000092CC: E1341100 80088D08
	v_mfma_f32_16x16x16_bf16 v[52:55], a[154:155], a[26:27], v[52:55]// 0000000092D4: D3E10034 1CD2359A
	ds_read_b128 v[108:111], v12 offset:13056                  // 0000000092DC: D9FE3300 6C00000C
	ds_write_b32 v11, v32                                      // 0000000092E4: D81A0000 0000200B
	v_mfma_f32_16x16x16_bf16 v[52:55], a[156:157], a[28:29], v[52:55]// 0000000092EC: D3E10034 1CD2399C
	v_mfma_f32_16x16x16_bf16 v[52:55], a[158:159], a[30:31], v[52:55]// 0000000092F4: D3E10034 1CD23D9E
	v_mfma_f32_16x16x16_bf16 v[56:59], a[144:145], a[32:33], 0 // 0000000092FC: D3E10038 1A024190
	ds_read_b128 v[112:115], v12 offset:13568                  // 000000009304: D9FE3500 7000000C
	ds_write_b32 v11, v33 offset:1056                          // 00000000930C: D81A0420 0000210B
	v_mfma_f32_16x16x16_bf16 v[56:59], a[146:147], a[34:35], v[56:59]// 000000009314: D3E10038 1CE24592
	buffer_atomic_add_f32 v142, v7, s[32:35], 0 offen offset:384// 00000000931C: E1341180 80088E07
	v_mfma_f32_16x16x16_bf16 v[56:59], a[148:149], a[36:37], v[56:59]// 000000009324: D3E10038 1CE24994
	v_mfma_f32_16x16x16_bf16 v[56:59], a[150:151], a[38:39], v[56:59]// 00000000932C: D3E10038 1CE24D96
	ds_read_b128 v[116:119], v12 offset:15232                  // 000000009334: D9FE3B80 7400000C
	ds_write_b32 v11, v34 offset:128                           // 00000000933C: D81A0080 0000220B
	v_mfma_f32_16x16x16_bf16 v[56:59], a[152:153], a[40:41], v[56:59]// 000000009344: D3E10038 1CE25198
	v_mfma_f32_16x16x16_bf16 v[56:59], a[154:155], a[42:43], v[56:59]// 00000000934C: D3E10038 1CE2559A
	buffer_atomic_add_f32 v143, v8, s[32:35], 0 offen offset:384// 000000009354: E1341180 80088F08
	v_mfma_f32_16x16x16_bf16 v[56:59], a[156:157], a[44:45], v[56:59]// 00000000935C: D3E10038 1CE2599C
	ds_read_b128 v[120:123], v12 offset:15744                  // 000000009364: D9FE3D80 7800000C
	ds_write_b32 v11, v35 offset:1184                          // 00000000936C: D81A04A0 0000230B
	v_mfma_f32_16x16x16_bf16 v[56:59], a[158:159], a[46:47], v[56:59]// 000000009374: D3E10038 1CE25D9E
	s_cmp_eq_i32 s94, 0                                        // 00000000937C: BF00805E
	s_cbranch_scc1 label_1604                                  // 000000009380: BF85008F
	s_cmp_lt_i32 s74, 12                                       // 000000009384: BF048C4A
	s_cbranch_scc0 label_15AF                                  // 000000009388: BF84003D
	s_lshl_b32 s60, s74, 4                                     // 00000000938C: 8E3C844A
	v_sub_i32 v28, v25, s60                                    // 000000009390: D29D001C 00007919
	s_mov_b32 s61, 0                                           // 000000009398: BEBD0080
	v_add_i32 v29, v28, s61                                    // 00000000939C: D29C001D 00007B1C
	v_cmp_gt_i32_e64 s[70:71], v29, 0                          // 0000000093A4: D0C40046 0001011D
	v_cmp_gt_i32_e64 s[96:97], v29, 1                          // 0000000093AC: D0C40060 0001031D
	v_cndmask_b32_e64 v48, v48, v151, s[70:71]                 // 0000000093B4: D1000030 011B2F30
	v_cndmask_b32_e64 v49, v49, v151, s[96:97]                 // 0000000093BC: D1000031 01832F31
	v_cmp_gt_i32_e64 s[70:71], v29, 2                          // 0000000093C4: D0C40046 0001051D
	v_cmp_gt_i32_e64 s[96:97], v29, 3                          // 0000000093CC: D0C40060 0001071D
	v_cndmask_b32_e64 v50, v50, v151, s[70:71]                 // 0000000093D4: D1000032 011B2F32
	v_cndmask_b32_e64 v51, v51, v151, s[96:97]                 // 0000000093DC: D1000033 01832F33
	s_mov_b32 s61, 64                                          // 0000000093E4: BEBD00C0
	v_add_i32 v29, v28, s61                                    // 0000000093E8: D29C001D 00007B1C
	v_cmp_gt_i32_e64 s[70:71], v29, 0                          // 0000000093F0: D0C40046 0001011D
	v_cmp_gt_i32_e64 s[96:97], v29, 1                          // 0000000093F8: D0C40060 0001031D
	v_cndmask_b32_e64 v52, v52, v151, s[70:71]                 // 000000009400: D1000034 011B2F34
	v_cndmask_b32_e64 v53, v53, v151, s[96:97]                 // 000000009408: D1000035 01832F35
	v_cmp_gt_i32_e64 s[70:71], v29, 2                          // 000000009410: D0C40046 0001051D
	v_cmp_gt_i32_e64 s[96:97], v29, 3                          // 000000009418: D0C40060 0001071D
	v_cndmask_b32_e64 v54, v54, v151, s[70:71]                 // 000000009420: D1000036 011B2F36
	v_cndmask_b32_e64 v55, v55, v151, s[96:97]                 // 000000009428: D1000037 01832F37
	s_mov_b32 s61, 0x80                                        // 000000009430: BEBD00FF 00000080
	v_add_i32 v29, v28, s61                                    // 000000009438: D29C001D 00007B1C
	v_cmp_gt_i32_e64 s[70:71], v29, 0                          // 000000009440: D0C40046 0001011D
	v_cmp_gt_i32_e64 s[96:97], v29, 1                          // 000000009448: D0C40060 0001031D
	v_cndmask_b32_e64 v56, v56, v151, s[70:71]                 // 000000009450: D1000038 011B2F38
	v_cndmask_b32_e64 v57, v57, v151, s[96:97]                 // 000000009458: D1000039 01832F39
	v_cmp_gt_i32_e64 s[70:71], v29, 2                          // 000000009460: D0C40046 0001051D
	v_cmp_gt_i32_e64 s[96:97], v29, 3                          // 000000009468: D0C40060 0001071D
	v_cndmask_b32_e64 v58, v58, v151, s[70:71]                 // 000000009470: D100003A 011B2F3A
	v_cndmask_b32_e64 v59, v59, v151, s[96:97]                 // 000000009478: D100003B 01832F3B

0000000000009480 <label_15AF>:
	s_cmp_lt_i32 s100, 0xc0                                    // 000000009480: BF04FF64 000000C0
	s_cbranch_scc0 label_1604                                  // 000000009488: BF84004D
	s_cmp_le_i32 s100, 64                                      // 00000000948C: BF05C064
	s_cbranch_scc1 label_15BB                                  // 000000009490: BF850007
	s_cmp_le_i32 s100, 0x80                                    // 000000009494: BF05FF64 00000080
	s_cbranch_scc1 label_15D3                                  // 00000000949C: BF850017
	s_cmp_lt_i32 s100, 0xc0                                    // 0000000094A0: BF04FF64 000000C0
	s_cbranch_scc1 label_15EB                                  // 0000000094A8: BF85002C
	s_branch label_1604                                        // 0000000094AC: BF820044

00000000000094b0 <label_15BB>:
	s_mov_b32 s60, 0                                           // 0000000094B0: BEBC0080
	v_and_b32_e32 v28, 15, v0                                  // 0000000094B4: 2638008F
	v_add_u32_e64 v28, v28, s60                                // 0000000094B8: D134001C 0000791C
	v_mul_i32_i24_e64 v29, s46, 16                             // 0000000094C0: D106001D 0001202E
	v_add_u32_e32 v28, v28, v29                                // 0000000094C8: 68383B1C
	v_cmp_lt_u32_e64 s[60:61], v28, s100                       // 0000000094CC: D0C9003C 0000C91C
	s_nop 1                                                    // 0000000094D4: BF800001
	v_cndmask_b32_e64 v48, v151, v48, s[60:61]                 // 0000000094D8: D1000030 00F26197
	v_cndmask_b32_e64 v49, v151, v49, s[60:61]                 // 0000000094E0: D1000031 00F26397
	v_cndmask_b32_e64 v50, v151, v50, s[60:61]                 // 0000000094E8: D1000032 00F26597
	v_cndmask_b32_e64 v51, v151, v51, s[60:61]                 // 0000000094F0: D1000033 00F26797
	s_branch label_15E6                                        // 0000000094F8: BF820013

00000000000094fc <label_15D3>:
	s_mov_b32 s60, 64                                          // 0000000094FC: BEBC00C0
	v_and_b32_e32 v28, 15, v0                                  // 000000009500: 2638008F
	v_add_u32_e64 v28, v28, s60                                // 000000009504: D134001C 0000791C
	v_mul_i32_i24_e64 v29, s46, 16                             // 00000000950C: D106001D 0001202E
	v_add_u32_e32 v28, v28, v29                                // 000000009514: 68383B1C
	v_cmp_lt_u32_e64 s[60:61], v28, s100                       // 000000009518: D0C9003C 0000C91C
	s_nop 1                                                    // 000000009520: BF800001
	v_cndmask_b32_e64 v52, v151, v52, s[60:61]                 // 000000009524: D1000034 00F26997
	v_cndmask_b32_e64 v53, v151, v53, s[60:61]                 // 00000000952C: D1000035 00F26B97
	v_cndmask_b32_e64 v54, v151, v54, s[60:61]                 // 000000009534: D1000036 00F26D97
	v_cndmask_b32_e64 v55, v151, v55, s[60:61]                 // 00000000953C: D1000037 00F26F97
	s_branch label_15FF                                        // 000000009544: BF820019

0000000000009548 <label_15E6>:
	v_mov_b32_e32 v52, v151                                    // 000000009548: 7E680397
	v_mov_b32_e32 v53, v151                                    // 00000000954C: 7E6A0397
	v_mov_b32_e32 v54, v151                                    // 000000009550: 7E6C0397
	v_mov_b32_e32 v55, v151                                    // 000000009554: 7E6E0397
	s_branch label_15FF                                        // 000000009558: BF820014

000000000000955c <label_15EB>:
	s_mov_b32 s60, 0x80                                        // 00000000955C: BEBC00FF 00000080
	v_and_b32_e32 v28, 15, v0                                  // 000000009564: 2638008F
	v_add_u32_e64 v28, v28, s60                                // 000000009568: D134001C 0000791C
	v_mul_i32_i24_e64 v29, s46, 16                             // 000000009570: D106001D 0001202E
	v_add_u32_e32 v28, v28, v29                                // 000000009578: 68383B1C
	v_cmp_lt_u32_e64 s[60:61], v28, s100                       // 00000000957C: D0C9003C 0000C91C
	s_nop 1                                                    // 000000009584: BF800001
	v_cndmask_b32_e64 v56, v151, v56, s[60:61]                 // 000000009588: D1000038 00F27197
	v_cndmask_b32_e64 v57, v151, v57, s[60:61]                 // 000000009590: D1000039 00F27397
	v_cndmask_b32_e64 v58, v151, v58, s[60:61]                 // 000000009598: D100003A 00F27597
	v_cndmask_b32_e64 v59, v151, v59, s[60:61]                 // 0000000095A0: D100003B 00F27797
	s_branch label_1604                                        // 0000000095A8: BF820005

00000000000095ac <label_15FF>:
	v_mov_b32_e32 v56, v151                                    // 0000000095AC: 7E700397
	v_mov_b32_e32 v57, v151                                    // 0000000095B0: 7E720397
	v_mov_b32_e32 v58, v151                                    // 0000000095B4: 7E740397
	v_mov_b32_e32 v59, v151                                    // 0000000095B8: 7E760397
	s_branch label_1604                                        // 0000000095BC: BF820000

00000000000095c0 <label_1604>:
	s_addk_i32 s74, 0x1                                        // 0000000095C0: B74A0001
	s_waitcnt lgkmcnt(8)                                       // 0000000095C4: BF8CC87F
	s_barrier                                                  // 0000000095C8: BF8A0000
	v_mfma_f32_16x16x16_bf16 v[72:75], v[92:93], a[96:97], 0   // 0000000095CC: D3E10048 1202C15C
	v_fma_f32 v48, v48, s57, -v124                             // 0000000095D4: D1CB0030 85F07330
	v_fma_f32 v49, v49, s57, -v125                             // 0000000095DC: D1CB0031 85F47331
	v_fma_f32 v50, v50, s57, -v126                             // 0000000095E4: D1CB0032 85F87332
	v_mfma_f32_16x16x16_bf16 v[72:75], v[94:95], a[98:99], v[72:75]// 0000000095EC: D3E10048 1522C55E
	ds_read_b128 a[144:147], v12 offset:4352                   // 0000000095F4: DBFE1100 9000000C
	ds_read_b128 a[148:151], v12 offset:4864                   // 0000000095FC: DBFE1300 9400000C
	v_mfma_f32_16x16x16_bf16 v[72:75], v[96:97], a[100:101], v[72:75]// 000000009604: D3E10048 1522C960
	v_fma_f32 v51, v51, s57, -v127                             // 00000000960C: D1CB0033 85FC7333
	v_fma_f32 v52, v52, s57, -v124                             // 000000009614: D1CB0034 85F07334
	v_fma_f32 v53, v53, s57, -v125                             // 00000000961C: D1CB0035 85F47335
	v_mfma_f32_16x16x16_bf16 v[72:75], v[98:99], a[102:103], v[72:75]// 000000009624: D3E10048 1522CD62
	v_fma_f32 v54, v54, s57, -v126                             // 00000000962C: D1CB0036 85F87336
	v_fma_f32 v55, v55, s57, -v127                             // 000000009634: D1CB0037 85FC7337
	v_fma_f32 v56, v56, s57, -v124                             // 00000000963C: D1CB0038 85F07338
	v_mfma_f32_16x16x16_bf16 v[72:75], v[100:101], a[104:105], v[72:75]// 000000009644: D3E10048 1522D164
	v_fma_f32 v57, v57, s57, -v125                             // 00000000964C: D1CB0039 85F47339
	v_fma_f32 v58, v58, s57, -v126                             // 000000009654: D1CB003A 85F8733A
	v_fma_f32 v59, v59, s57, -v127                             // 00000000965C: D1CB003B 85FC733B
	v_mfma_f32_16x16x16_bf16 v[72:75], v[102:103], a[106:107], v[72:75]// 000000009664: D3E10048 1522D566
	ds_read_b128 a[152:155], v12 offset:6528                   // 00000000966C: DBFE1980 9800000C
	ds_read_b128 a[156:159], v12 offset:7040                   // 000000009674: DBFE1B80 9C00000C
	v_mfma_f32_16x16x16_bf16 v[72:75], v[104:105], a[108:109], v[72:75]// 00000000967C: D3E10048 1522D968
	v_exp_f32_e32 v48, v48                                     // 000000009684: 7E604130
	v_mfma_f32_16x16x16_bf16 v[72:75], v[106:107], a[110:111], v[72:75]// 000000009688: D3E10048 1522DD6A
	v_exp_f32_e32 v49, v49                                     // 000000009690: 7E624131
	v_mfma_f32_16x16x16_bf16 v[76:79], v[92:93], a[112:113], 0 // 000000009694: D3E1004C 1202E15C
	v_exp_f32_e32 v50, v50                                     // 00000000969C: 7E644132
	v_mfma_f32_16x16x16_bf16 v[76:79], v[94:95], a[114:115], v[76:79]// 0000000096A0: D3E1004C 1532E55E
	ds_read_b64 v[136:137], v19 offset:24320                   // 0000000096A8: D8EC5F00 88000013
	ds_read_b64 v[138:139], v19 offset:26368                   // 0000000096B0: D8EC6700 8A000013
	v_mfma_f32_16x16x16_bf16 v[76:79], v[96:97], a[116:117], v[76:79]// 0000000096B8: D3E1004C 1532E960
	v_exp_f32_e32 v51, v51                                     // 0000000096C0: 7E664133
	v_mfma_f32_16x16x16_bf16 v[76:79], v[98:99], a[118:119], v[76:79]// 0000000096C4: D3E1004C 1532ED62
	ds_read_b64 v[140:141], v19 offset:28416                   // 0000000096CC: D8EC6F00 8C000013
	ds_read_b64 v[142:143], v19 offset:30464                   // 0000000096D4: D8EC7700 8E000013
	v_mfma_f32_16x16x16_bf16 v[76:79], v[100:101], a[120:121], v[76:79]// 0000000096DC: D3E1004C 1532F164
	v_exp_f32_e32 v52, v52                                     // 0000000096E4: 7E684134
	v_mfma_f32_16x16x16_bf16 v[76:79], v[102:103], a[122:123], v[76:79]// 0000000096E8: D3E1004C 1532F566
	v_exp_f32_e32 v53, v53                                     // 0000000096F0: 7E6A4135
	v_mfma_f32_16x16x16_bf16 v[76:79], v[104:105], a[124:125], v[76:79]// 0000000096F4: D3E1004C 1532F968
	v_exp_f32_e32 v54, v54                                     // 0000000096FC: 7E6C4136
	v_mfma_f32_16x16x16_bf16 v[76:79], v[106:107], a[126:127], v[76:79]// 000000009700: D3E1004C 1532FD6A
	v_exp_f32_e32 v55, v55                                     // 000000009708: 7E6E4137
	v_mfma_f32_16x16x16_bf16 v[80:83], v[92:93], a[128:129], 0 // 00000000970C: D3E10050 1203015C
	v_exp_f32_e32 v56, v56                                     // 000000009714: 7E704138
	v_mfma_f32_16x16x16_bf16 v[80:83], v[94:95], a[130:131], v[80:83]// 000000009718: D3E10050 1543055E
	v_exp_f32_e32 v57, v57                                     // 000000009720: 7E724139
	v_mfma_f32_16x16x16_bf16 v[80:83], v[96:97], a[132:133], v[80:83]// 000000009724: D3E10050 15430960
	v_exp_f32_e32 v58, v58                                     // 00000000972C: 7E74413A
	v_mfma_f32_16x16x16_bf16 v[80:83], v[98:99], a[134:135], v[80:83]// 000000009730: D3E10050 15430D62
	v_exp_f32_e32 v59, v59                                     // 000000009738: 7E76413B
	v_mfma_f32_16x16x16_bf16 v[80:83], v[100:101], a[136:137], v[80:83]// 00000000973C: D3E10050 15431164
	v_cmp_u_f32_e64 s[78:79], v48, v48                         // 000000009744: D048004E 00026130
	v_add3_u32 v248, v48, v251, 1                              // 00000000974C: D1FF00F8 0207F730
	v_cndmask_b32_e64 v28, v248, v250, s[78:79]                // 000000009754: D100001C 013BF5F8
	v_cmp_u_f32_e64 s[78:79], v49, v49                         // 00000000975C: D048004E 00026331
	v_add3_u32 v248, v49, v251, 1                              // 000000009764: D1FF00F8 0207F731
	v_cndmask_b32_e64 v29, v248, v250, s[78:79]                // 00000000976C: D100001D 013BF5F8
	v_perm_b32 v144, v29, v28, s64                             // 000000009774: D1ED0090 0102391D
	v_cmp_u_f32_e64 s[78:79], v50, v50                         // 00000000977C: D048004E 00026532
	v_add3_u32 v248, v50, v251, 1                              // 000000009784: D1FF00F8 0207F732
	v_cndmask_b32_e64 v28, v248, v250, s[78:79]                // 00000000978C: D100001C 013BF5F8
	v_cmp_u_f32_e64 s[78:79], v51, v51                         // 000000009794: D048004E 00026733
	v_add3_u32 v248, v51, v251, 1                              // 00000000979C: D1FF00F8 0207F733
	v_cndmask_b32_e64 v29, v248, v250, s[78:79]                // 0000000097A4: D100001D 013BF5F8
	v_perm_b32 v145, v29, v28, s64                             // 0000000097AC: D1ED0091 0102391D
	v_cmp_u_f32_e64 s[78:79], v52, v52                         // 0000000097B4: D048004E 00026934
	v_add3_u32 v248, v52, v251, 1                              // 0000000097BC: D1FF00F8 0207F734
	v_cndmask_b32_e64 v28, v248, v250, s[78:79]                // 0000000097C4: D100001C 013BF5F8
	v_cmp_u_f32_e64 s[78:79], v53, v53                         // 0000000097CC: D048004E 00026B35
	v_add3_u32 v248, v53, v251, 1                              // 0000000097D4: D1FF00F8 0207F735
	v_cndmask_b32_e64 v29, v248, v250, s[78:79]                // 0000000097DC: D100001D 013BF5F8
	v_perm_b32 v146, v29, v28, s64                             // 0000000097E4: D1ED0092 0102391D
	v_mfma_f32_16x16x16_bf16 v[80:83], v[102:103], a[138:139], v[80:83]// 0000000097EC: D3E10050 15431566
	v_cmp_u_f32_e64 s[78:79], v54, v54                         // 0000000097F4: D048004E 00026D36
	v_add3_u32 v248, v54, v251, 1                              // 0000000097FC: D1FF00F8 0207F736
	v_cndmask_b32_e64 v28, v248, v250, s[78:79]                // 000000009804: D100001C 013BF5F8
	v_cmp_u_f32_e64 s[78:79], v55, v55                         // 00000000980C: D048004E 00026F37
	v_add3_u32 v248, v55, v251, 1                              // 000000009814: D1FF00F8 0207F737
	v_cndmask_b32_e64 v29, v248, v250, s[78:79]                // 00000000981C: D100001D 013BF5F8
	v_perm_b32 v147, v29, v28, s64                             // 000000009824: D1ED0093 0102391D
	v_cmp_u_f32_e64 s[78:79], v56, v56                         // 00000000982C: D048004E 00027138
	v_add3_u32 v248, v56, v251, 1                              // 000000009834: D1FF00F8 0207F738
	v_cndmask_b32_e64 v28, v248, v250, s[78:79]                // 00000000983C: D100001C 013BF5F8
	v_cmp_u_f32_e64 s[78:79], v57, v57                         // 000000009844: D048004E 00027339
	v_add3_u32 v248, v57, v251, 1                              // 00000000984C: D1FF00F8 0207F739
	v_cndmask_b32_e64 v29, v248, v250, s[78:79]                // 000000009854: D100001D 013BF5F8
	v_perm_b32 v148, v29, v28, s64                             // 00000000985C: D1ED0094 0102391D
	v_cmp_u_f32_e64 s[78:79], v58, v58                         // 000000009864: D048004E 0002753A
	v_add3_u32 v248, v58, v251, 1                              // 00000000986C: D1FF00F8 0207F73A
	v_cndmask_b32_e64 v28, v248, v250, s[78:79]                // 000000009874: D100001C 013BF5F8
	v_cmp_u_f32_e64 s[78:79], v59, v59                         // 00000000987C: D048004E 0002773B
	v_add3_u32 v248, v59, v251, 1                              // 000000009884: D1FF00F8 0207F73B
	v_cndmask_b32_e64 v29, v248, v250, s[78:79]                // 00000000988C: D100001D 013BF5F8
	v_perm_b32 v149, v29, v28, s64                             // 000000009894: D1ED0095 0102391D
	v_mfma_f32_16x16x16_bf16 v[80:83], v[104:105], a[140:141], v[80:83]// 00000000989C: D3E10050 15431968
	v_add_u32_e32 v7, s66, v7                                  // 0000000098A4: 680E0E42
	v_add_u32_e32 v8, s66, v8                                  // 0000000098A8: 68101042
	v_mfma_f32_16x16x16_bf16 v[80:83], v[106:107], a[142:143], v[80:83]// 0000000098AC: D3E10050 15431D6A
	s_waitcnt lgkmcnt(0)                                       // 0000000098B4: BF8CC07F
	s_barrier                                                  // 0000000098B8: BF8A0000
	v_mfma_f32_16x16x16_bf16 v[152:155], v[108:109], v[144:145], v[152:155]// 0000000098BC: D3E10098 0663216C
	v_subrev_f32_dpp v72, v150, v72 quad_perm:[0,0,0,0] row_mask:0xf bank_mask:0xf// 0000000098C4: 069090FA FF000096
	v_subrev_f32_dpp v73, v150, v73 quad_perm:[1,1,1,1] row_mask:0xf bank_mask:0xf// 0000000098CC: 069292FA FF005596
	v_subrev_f32_dpp v74, v150, v74 quad_perm:[2,2,2,2] row_mask:0xf bank_mask:0xf// 0000000098D4: 069494FA FF00AA96
	v_mfma_f32_16x16x16_bf16 v[156:159], v[110:111], v[144:145], v[156:159]// 0000000098DC: D3E1009C 0673216E
	v_subrev_f32_dpp v75, v150, v75 quad_perm:[3,3,3,3] row_mask:0xf bank_mask:0xf// 0000000098E4: 069696FA FF00FF96
	v_subrev_f32_dpp v76, v150, v76 quad_perm:[0,0,0,0] row_mask:0xf bank_mask:0xf// 0000000098EC: 069898FA FF000096
	v_subrev_f32_dpp v77, v150, v77 quad_perm:[1,1,1,1] row_mask:0xf bank_mask:0xf// 0000000098F4: 069A9AFA FF005596
	v_mfma_f32_16x16x16_bf16 v[160:163], v[112:113], v[144:145], v[160:163]// 0000000098FC: D3E100A0 06832170
	v_mul_f32_e32 v72, v48, v72                                // 000000009904: 0A909130
	v_mul_f32_e32 v73, v49, v73                                // 000000009908: 0A929331
	v_mul_f32_e32 v74, v50, v74                                // 00000000990C: 0A949532
	v_mfma_f32_16x16x16_bf16 v[164:167], v[114:115], v[144:145], v[164:167]// 000000009910: D3E100A4 06932172
	v_mul_f32_e32 v75, v51, v75                                // 000000009918: 0A969733
	v_mul_f32_e32 v76, v52, v76                                // 00000000991C: 0A989934
	v_mul_f32_e32 v77, v53, v77                                // 000000009920: 0A9A9B35
	v_mfma_f32_16x16x16_bf16 v[168:171], v[116:117], v[144:145], v[168:171]// 000000009924: D3E100A8 06A32174
	v_cmp_u_f32_e64 s[78:79], v72, v72                         // 00000000992C: D048004E 00029148
	v_add3_u32 v248, v72, v251, 1                              // 000000009934: D1FF00F8 0207F748
	v_cndmask_b32_e64 v28, v248, v250, s[78:79]                // 00000000993C: D100001C 013BF5F8
	v_cmp_u_f32_e64 s[78:79], v73, v73                         // 000000009944: D048004E 00029349
	v_add3_u32 v248, v73, v251, 1                              // 00000000994C: D1FF00F8 0207F749
	v_cndmask_b32_e64 v29, v248, v250, s[78:79]                // 000000009954: D100001D 013BF5F8
	v_perm_b32 v72, v29, v28, s64                              // 00000000995C: D1ED0048 0102391D
	v_cmp_u_f32_e64 s[78:79], v74, v74                         // 000000009964: D048004E 0002954A
	v_add3_u32 v248, v74, v251, 1                              // 00000000996C: D1FF00F8 0207F74A
	v_cndmask_b32_e64 v28, v248, v250, s[78:79]                // 000000009974: D100001C 013BF5F8
	v_cmp_u_f32_e64 s[78:79], v75, v75                         // 00000000997C: D048004E 0002974B
	v_add3_u32 v248, v75, v251, 1                              // 000000009984: D1FF00F8 0207F74B
	v_cndmask_b32_e64 v29, v248, v250, s[78:79]                // 00000000998C: D100001D 013BF5F8
	v_perm_b32 v73, v29, v28, s64                              // 000000009994: D1ED0049 0102391D
	v_cmp_u_f32_e64 s[78:79], v76, v76                         // 00000000999C: D048004E 0002994C
	v_add3_u32 v248, v76, v251, 1                              // 0000000099A4: D1FF00F8 0207F74C
	v_cndmask_b32_e64 v28, v248, v250, s[78:79]                // 0000000099AC: D100001C 013BF5F8
	v_cmp_u_f32_e64 s[78:79], v77, v77                         // 0000000099B4: D048004E 00029B4D
	v_add3_u32 v248, v77, v251, 1                              // 0000000099BC: D1FF00F8 0207F74D
	v_cndmask_b32_e64 v29, v248, v250, s[78:79]                // 0000000099C4: D100001D 013BF5F8
	v_perm_b32 v74, v29, v28, s64                              // 0000000099CC: D1ED004A 0102391D
	v_mfma_f32_16x16x16_bf16 v[172:175], v[118:119], v[144:145], v[172:175]// 0000000099D4: D3E100AC 06B32176
	v_mov_b32_dpp v16, v72 quad_perm:[1,0,3,2] row_mask:0xf bank_mask:0xf// 0000000099DC: 7E2002FA FF00B148
	v_perm_b32 v48, v16, v72, v15                              // 0000000099E4: D1ED0030 043E9110
	v_mov_b32_dpp v16, v73 quad_perm:[1,0,3,2] row_mask:0xf bank_mask:0xf// 0000000099EC: 7E2002FA FF00B149
	v_mfma_f32_16x16x16_bf16 v[176:179], v[120:121], v[144:145], v[176:179]// 0000000099F4: D3E100B0 06C32178
	ds_write_b32 v18, v48 offset:17408                         // 0000000099FC: D81A4400 00003012
	v_mfma_f32_16x16x16_bf16 v[180:183], v[122:123], v[144:145], v[180:183]// 000000009A04: D3E100B4 06D3217A
	v_perm_b32 v49, v16, v73, v15                              // 000000009A0C: D1ED0031 043E9310
	v_mov_b32_dpp v16, v74 quad_perm:[1,0,3,2] row_mask:0xf bank_mask:0xf// 000000009A14: 7E2002FA FF00B14A
	v_perm_b32 v50, v16, v74, v15                              // 000000009A1C: D1ED0032 043E9510
	v_mfma_f32_16x16x16_bf16 v[184:187], v[108:109], v[146:147], v[184:187]// 000000009A24: D3E100B8 06E3256C
	ds_write_b32 v18, v49 offset:17952                         // 000000009A2C: D81A4620 00003112
	v_mfma_f32_16x16x16_bf16 v[188:191], v[110:111], v[146:147], v[188:191]// 000000009A34: D3E100BC 06F3256E
	v_subrev_f32_dpp v78, v150, v78 quad_perm:[2,2,2,2] row_mask:0xf bank_mask:0xf// 000000009A3C: 069C9CFA FF00AA96
	v_subrev_f32_dpp v79, v150, v79 quad_perm:[3,3,3,3] row_mask:0xf bank_mask:0xf// 000000009A44: 069E9EFA FF00FF96
	v_subrev_f32_dpp v80, v150, v80 quad_perm:[0,0,0,0] row_mask:0xf bank_mask:0xf// 000000009A4C: 06A0A0FA FF000096
	v_mfma_f32_16x16x16_bf16 v[192:195], v[112:113], v[146:147], v[192:195]// 000000009A54: D3E100C0 07032570
	ds_write_b32 v18, v50 offset:19712                         // 000000009A5C: D81A4D00 00003212
	v_mfma_f32_16x16x16_bf16 v[196:199], v[114:115], v[146:147], v[196:199]// 000000009A64: D3E100C4 07132572
	v_subrev_f32_dpp v81, v150, v81 quad_perm:[1,1,1,1] row_mask:0xf bank_mask:0xf// 000000009A6C: 06A2A2FA FF005596
	v_subrev_f32_dpp v82, v150, v82 quad_perm:[2,2,2,2] row_mask:0xf bank_mask:0xf// 000000009A74: 06A4A4FA FF00AA96
	v_subrev_f32_dpp v83, v150, v83 quad_perm:[3,3,3,3] row_mask:0xf bank_mask:0xf// 000000009A7C: 06A6A6FA FF00FF96
	v_mfma_f32_16x16x16_bf16 v[200:203], v[116:117], v[146:147], v[200:203]// 000000009A84: D3E100C8 07232574
	v_mul_f32_e32 v78, v54, v78                                // 000000009A8C: 0A9C9D36
	v_mul_f32_e32 v79, v55, v79                                // 000000009A90: 0A9E9F37
	v_mul_f32_e32 v80, v56, v80                                // 000000009A94: 0AA0A138
	v_mfma_f32_16x16x16_bf16 v[204:207], v[118:119], v[146:147], v[204:207]// 000000009A98: D3E100CC 07332576
	v_mul_f32_e32 v81, v57, v81                                // 000000009AA0: 0AA2A339
	v_mul_f32_e32 v82, v58, v82                                // 000000009AA4: 0AA4A53A
	v_mul_f32_e32 v83, v59, v83                                // 000000009AA8: 0AA6A73B
	v_mfma_f32_16x16x16_bf16 v[208:211], v[120:121], v[146:147], v[208:211]// 000000009AAC: D3E100D0 07432578
	v_cmp_u_f32_e64 s[78:79], v78, v78                         // 000000009AB4: D048004E 00029D4E
	v_add3_u32 v248, v78, v251, 1                              // 000000009ABC: D1FF00F8 0207F74E
	v_cndmask_b32_e64 v28, v248, v250, s[78:79]                // 000000009AC4: D100001C 013BF5F8
	v_cmp_u_f32_e64 s[78:79], v79, v79                         // 000000009ACC: D048004E 00029F4F
	v_add3_u32 v248, v79, v251, 1                              // 000000009AD4: D1FF00F8 0207F74F
	v_cndmask_b32_e64 v29, v248, v250, s[78:79]                // 000000009ADC: D100001D 013BF5F8
	v_perm_b32 v75, v29, v28, s64                              // 000000009AE4: D1ED004B 0102391D
	v_cmp_u_f32_e64 s[78:79], v80, v80                         // 000000009AEC: D048004E 0002A150
	v_add3_u32 v248, v80, v251, 1                              // 000000009AF4: D1FF00F8 0207F750
	v_cndmask_b32_e64 v28, v248, v250, s[78:79]                // 000000009AFC: D100001C 013BF5F8
	v_cmp_u_f32_e64 s[78:79], v81, v81                         // 000000009B04: D048004E 0002A351
	v_add3_u32 v248, v81, v251, 1                              // 000000009B0C: D1FF00F8 0207F751
	v_cndmask_b32_e64 v29, v248, v250, s[78:79]                // 000000009B14: D100001D 013BF5F8
	v_perm_b32 v76, v29, v28, s64                              // 000000009B1C: D1ED004C 0102391D
	v_cmp_u_f32_e64 s[78:79], v82, v82                         // 000000009B24: D048004E 0002A552
	v_add3_u32 v248, v82, v251, 1                              // 000000009B2C: D1FF00F8 0207F752
	v_cndmask_b32_e64 v28, v248, v250, s[78:79]                // 000000009B34: D100001C 013BF5F8
	v_cmp_u_f32_e64 s[78:79], v83, v83                         // 000000009B3C: D048004E 0002A753
	v_add3_u32 v248, v83, v251, 1                              // 000000009B44: D1FF00F8 0207F753
	v_cndmask_b32_e64 v29, v248, v250, s[78:79]                // 000000009B4C: D100001D 013BF5F8
	v_perm_b32 v77, v29, v28, s64                              // 000000009B54: D1ED004D 0102391D
	v_mfma_f32_16x16x16_bf16 v[212:215], v[122:123], v[146:147], v[212:215]// 000000009B5C: D3E100D4 0753257A
	v_mov_b32_dpp v16, v75 quad_perm:[1,0,3,2] row_mask:0xf bank_mask:0xf// 000000009B64: 7E2002FA FF00B14B
	v_perm_b32 v51, v16, v75, v15                              // 000000009B6C: D1ED0033 043E9710
	v_mov_b32_dpp v16, v76 quad_perm:[1,0,3,2] row_mask:0xf bank_mask:0xf// 000000009B74: 7E2002FA FF00B14C
	v_mfma_f32_16x16x16_bf16 v[216:219], v[108:109], v[148:149], v[216:219]// 000000009B7C: D3E100D8 0763296C
	ds_write_b32 v18, v51 offset:20256                         // 000000009B84: D81A4F20 00003312
	v_mfma_f32_16x16x16_bf16 v[220:223], v[110:111], v[148:149], v[220:223]// 000000009B8C: D3E100DC 0773296E
	v_perm_b32 v52, v16, v76, v15                              // 000000009B94: D1ED0034 043E9910
	v_mov_b32_dpp v16, v77 quad_perm:[1,0,3,2] row_mask:0xf bank_mask:0xf// 000000009B9C: 7E2002FA FF00B14D
	v_perm_b32 v53, v16, v77, v15                              // 000000009BA4: D1ED0035 043E9B10
	v_mfma_f32_16x16x16_bf16 v[224:227], v[112:113], v[148:149], v[224:227]// 000000009BAC: D3E100E0 07832970
	ds_write_b32 v18, v52 offset:22016                         // 000000009BB4: D81A5600 00003412
	ds_write_b32 v18, v53 offset:22560                         // 000000009BBC: D81A5820 00003512
	v_mfma_f32_16x16x16_bf16 v[228:231], v[114:115], v[148:149], v[228:231]// 000000009BC4: D3E100E4 07932972
	v_mfma_f32_16x16x16_bf16 v[232:235], v[116:117], v[148:149], v[232:235]// 000000009BCC: D3E100E8 07A32974
	ds_write_b32 v13, v84 offset:4352                          // 000000009BD4: D81A1100 0000540D
	ds_write_b32 v13, v85 offset:5408                          // 000000009BDC: D81A1520 0000550D
	v_mfma_f32_16x16x16_bf16 v[236:239], v[118:119], v[148:149], v[236:239]// 000000009BE4: D3E100EC 07B32976
	v_mfma_f32_16x16x16_bf16 v[240:243], v[120:121], v[148:149], v[240:243]// 000000009BEC: D3E100F0 07C32978
	ds_write_b32 v13, v86 offset:4480                          // 000000009BF4: D81A1180 0000560D
	ds_write_b32 v13, v87 offset:5536                          // 000000009BFC: D81A15A0 0000570D
	v_mfma_f32_16x16x16_bf16 v[244:247], v[122:123], v[148:149], v[244:247]// 000000009C04: D3E100F4 07D3297A
	s_nop 0                                                    // 000000009C0C: BF800000
	s_nop 0                                                    // 000000009C10: BF800000
	s_nop 0                                                    // 000000009C14: BF800000
	s_barrier                                                  // 000000009C18: BF8A0000
	v_mfma_f32_16x16x16_bf16 a[160:163], a[144:145], v[72:73], a[160:163]// 000000009C1C: D3E180A0 0E829190
	ds_read_b32 v124, v21 offset:50688                         // 000000009C24: D86CC600 7C000015
	ds_read_b32 v150, v21 offset:50944                         // 000000009C2C: D86CC700 96000015
	v_mfma_f32_16x16x16_bf16 a[164:167], a[146:147], v[72:73], a[164:167]// 000000009C34: D3E180A4 0E929192
	buffer_atomic_add_f32 v136, v7, s[32:35], 0 offen          // 000000009C3C: E1341000 80088807
	v_mfma_f32_16x16x16_bf16 a[168:171], a[148:149], v[72:73], a[168:171]// 000000009C44: D3E180A8 0EA29194
	s_waitcnt lgkmcnt(6)                                       // 000000009C4C: BF8CC67F
	s_barrier                                                  // 000000009C50: BF8A0000
	v_mfma_f32_16x16x16_bf16 a[172:175], a[150:151], v[72:73], a[172:175]// 000000009C54: D3E180AC 0EB29196
	v_mfma_f32_16x16x16_bf16 a[176:179], a[152:153], v[72:73], a[176:179]// 000000009C5C: D3E180B0 0EC29198
	ds_read_b128 v[48:51], v17 offset:17408                    // 000000009C64: D9FE4400 30000011
	v_mfma_f32_16x16x16_bf16 a[180:183], a[154:155], v[72:73], a[180:183]// 000000009C6C: D3E180B4 0ED2919A
	v_mfma_f32_16x16x16_bf16 a[184:187], a[156:157], v[72:73], a[184:187]// 000000009C74: D3E180B8 0EE2919C
	ds_read_b128 v[52:55], v17 offset:18560                    // 000000009C7C: D9FE4880 34000011
	v_mfma_f32_16x16x16_bf16 a[188:191], a[158:159], v[72:73], a[188:191]// 000000009C84: D3E180BC 0EF2919E
	buffer_atomic_add_f32 v137, v8, s[32:35], 0 offen          // 000000009C8C: E1341000 80088908
	v_mfma_f32_16x16x16_bf16 a[192:195], a[144:145], v[74:75], a[192:195]// 000000009C94: D3E180C0 0F029590
	ds_read_b128 v[56:59], v17 offset:19712                    // 000000009C9C: D9FE4D00 38000011
	v_mfma_f32_16x16x16_bf16 a[196:199], a[146:147], v[74:75], a[196:199]// 000000009CA4: D3E180C4 0F129592
	v_mfma_f32_16x16x16_bf16 a[200:203], a[148:149], v[74:75], a[200:203]// 000000009CAC: D3E180C8 0F229594
	ds_read_b128 v[60:63], v17 offset:20864                    // 000000009CB4: D9FE5180 3C000011
	v_mfma_f32_16x16x16_bf16 a[204:207], a[150:151], v[74:75], a[204:207]// 000000009CBC: D3E180CC 0F329596
	v_mfma_f32_16x16x16_bf16 a[208:211], a[152:153], v[74:75], a[208:211]// 000000009CC4: D3E180D0 0F429598
	ds_read_b128 v[64:67], v17 offset:22016                    // 000000009CCC: D9FE5600 40000011
	v_mfma_f32_16x16x16_bf16 a[212:215], a[154:155], v[74:75], a[212:215]// 000000009CD4: D3E180D4 0F52959A
	buffer_atomic_add_f32 v138, v7, s[32:35], 0 offen offset:128// 000000009CDC: E1341080 80088A07
	v_mfma_f32_16x16x16_bf16 a[216:219], a[156:157], v[74:75], a[216:219]// 000000009CE4: D3E180D8 0F62959C
	ds_read_b128 v[68:71], v17 offset:23168                    // 000000009CEC: D9FE5A80 44000011
	v_mfma_f32_16x16x16_bf16 a[220:223], a[158:159], v[74:75], a[220:223]// 000000009CF4: D3E180DC 0F72959E
	v_mfma_f32_16x16x16_bf16 a[224:227], a[144:145], v[76:77], a[224:227]// 000000009CFC: D3E180E0 0F829990
	ds_write_b32 v13, v88 offset:13056                         // 000000009D04: D81A3300 0000580D
	v_mfma_f32_16x16x16_bf16 a[228:231], a[146:147], v[76:77], a[228:231]// 000000009D0C: D3E180E4 0F929992
	v_mfma_f32_16x16x16_bf16 a[232:235], a[148:149], v[76:77], a[232:235]// 000000009D14: D3E180E8 0FA29994
	ds_write_b32 v13, v89 offset:14112                         // 000000009D1C: D81A3720 0000590D
	v_mfma_f32_16x16x16_bf16 a[236:239], a[150:151], v[76:77], a[236:239]// 000000009D24: D3E180EC 0FB29996
	buffer_atomic_add_f32 v139, v8, s[32:35], 0 offen offset:128// 000000009D2C: E1341080 80088B08
	v_mfma_f32_16x16x16_bf16 a[240:243], a[152:153], v[76:77], a[240:243]// 000000009D34: D3E180F0 0FC29998
	ds_write_b32 v13, v90 offset:13184                         // 000000009D3C: D81A3380 00005A0D
	v_mfma_f32_16x16x16_bf16 a[244:247], a[154:155], v[76:77], a[244:247]// 000000009D44: D3E180F4 0FD2999A
	v_mfma_f32_16x16x16_bf16 a[248:251], a[156:157], v[76:77], a[248:251]// 000000009D4C: D3E180F8 0FE2999C
	ds_write_b32 v13, v91 offset:14240                         // 000000009D54: D81A37A0 00005B0D
	v_mfma_f32_16x16x16_bf16 a[252:255], a[158:159], v[76:77], a[252:255]// 000000009D5C: D3E180FC 0FF2999E
	s_waitcnt vmcnt(8) lgkmcnt(4)                              // 000000009D64: BF8C0478
	s_barrier                                                  // 000000009D68: BF8A0000
	v_mfma_f32_16x16x16_bf16 v[128:131], v[48:49], a[48:49], 0 // 000000009D6C: D3E10080 12026130
	ds_read_b128 a[144:147], v10                               // 000000009D74: DBFE0000 9000000A
	v_mov_b32_e32 v32, 0                                       // 000000009D7C: 7E400280
	s_mov_b64 exec, s[90:91]                                   // 000000009D80: BEFE015A
	buffer_load_dword v32, v1, s[8:11], 0 idxen                // 000000009D84: E0502000 80022001
	s_mov_b32 exec_lo, -1                                      // 000000009D8C: BEFE00C1
	s_mov_b32 exec_hi, -1                                      // 000000009D90: BEFF00C1
	v_mfma_f32_16x16x16_bf16 v[128:131], v[50:51], a[52:53], v[128:131]// 000000009D94: D3E10080 16026932
	v_mul_f32_e32 v124, s48, v124                              // 000000009D9C: 0AF8F830
	s_nop 0                                                    // 000000009DA0: BF800000
	v_mfma_f32_16x16x16_bf16 v[128:131], v[52:53], a[56:57], v[128:131]// 000000009DA4: D3E10080 16027134
	ds_read_b128 a[148:151], v10 offset:512                    // 000000009DAC: DBFE0200 9400000A
	v_mov_b32_e32 v33, 0                                       // 000000009DB4: 7E420280
	s_mov_b64 exec, s[90:91]                                   // 000000009DB8: BEFE015A
	buffer_load_dword v33, v2, s[8:11], 0 idxen                // 000000009DBC: E0502000 80022102
	s_mov_b32 exec_lo, -1                                      // 000000009DC4: BEFE00C1
	s_mov_b32 exec_hi, -1                                      // 000000009DC8: BEFF00C1
	v_mfma_f32_16x16x16_bf16 v[128:131], v[54:55], a[60:61], v[128:131]// 000000009DCC: D3E10080 16027936
	v_mfma_f32_16x16x16_bf16 v[128:131], v[56:57], a[64:65], v[128:131]// 000000009DD4: D3E10080 16028138
	ds_read_b128 a[152:155], v10 offset:2176                   // 000000009DDC: DBFE0880 9800000A
	v_mov_b32_e32 v34, 0                                       // 000000009DE4: 7E440280
	s_mov_b64 exec, s[90:91]                                   // 000000009DE8: BEFE015A
	buffer_load_dword v34, v3, s[8:11], 0 idxen                // 000000009DEC: E0502000 80022203
	s_mov_b32 exec_lo, -1                                      // 000000009DF4: BEFE00C1
	s_mov_b32 exec_hi, -1                                      // 000000009DF8: BEFF00C1
	v_mfma_f32_16x16x16_bf16 v[128:131], v[58:59], a[68:69], v[128:131]// 000000009DFC: D3E10080 1602893A
	v_perm_b32 v84, v37, v36, s63                              // 000000009E04: D1ED0054 00FE4925
	v_perm_b32 v85, v37, v36, s64                              // 000000009E0C: D1ED0055 01024925
	v_mfma_f32_16x16x16_bf16 v[128:131], v[60:61], a[72:73], v[128:131]// 000000009E14: D3E10080 1602913C
	ds_read_b128 a[156:159], v10 offset:2688                   // 000000009E1C: DBFE0A80 9C00000A
	v_mov_b32_e32 v35, 0                                       // 000000009E24: 7E460280
	s_mov_b64 exec, s[90:91]                                   // 000000009E28: BEFE015A
	buffer_load_dword v35, v4, s[8:11], 0 idxen                // 000000009E2C: E0502000 80022304
	s_mov_b32 exec_lo, -1                                      // 000000009E34: BEFE00C1
	s_mov_b32 exec_hi, -1                                      // 000000009E38: BEFF00C1
	v_mfma_f32_16x16x16_bf16 v[128:131], v[62:63], a[76:77], v[128:131]// 000000009E3C: D3E10080 1602993E
	v_perm_b32 v86, v39, v38, s63                              // 000000009E44: D1ED0056 00FE4D27
	v_perm_b32 v87, v39, v38, s64                              // 000000009E4C: D1ED0057 01024D27
	v_mfma_f32_16x16x16_bf16 v[128:131], v[64:65], a[80:81], v[128:131]// 000000009E54: D3E10080 1602A140
	ds_read_b128 v[92:95], v10 offset:8704                     // 000000009E5C: D9FE2200 5C00000A
	v_mov_b32_e32 v40, 0                                       // 000000009E64: 7E500280
	s_mov_b64 exec, s[90:91]                                   // 000000009E68: BEFE015A
	buffer_load_dword v40, v252, s[20:23], 0 idxen             // 000000009E6C: E0502000 800528FC
	s_mov_b32 exec_lo, -1                                      // 000000009E74: BEFE00C1
	s_mov_b32 exec_hi, -1                                      // 000000009E78: BEFF00C1
	v_mfma_f32_16x16x16_bf16 v[128:131], v[66:67], a[84:85], v[128:131]// 000000009E7C: D3E10080 1602A942
	v_perm_b32 v88, v45, v44, s63                              // 000000009E84: D1ED0058 00FE592D
	v_perm_b32 v89, v45, v44, s64                              // 000000009E8C: D1ED0059 0102592D
	v_mfma_f32_16x16x16_bf16 v[128:131], v[68:69], a[88:89], v[128:131]// 000000009E94: D3E10080 1602B144
	ds_read_b128 v[96:99], v10 offset:9216                     // 000000009E9C: D9FE2400 6000000A
	v_mov_b32_e32 v41, 0                                       // 000000009EA4: 7E520280
	s_mov_b64 exec, s[90:91]                                   // 000000009EA8: BEFE015A
	buffer_load_dword v41, v253, s[20:23], 0 idxen             // 000000009EAC: E0502000 800529FD
	s_mov_b32 exec_lo, -1                                      // 000000009EB4: BEFE00C1
	s_mov_b32 exec_hi, -1                                      // 000000009EB8: BEFF00C1
	v_mfma_f32_16x16x16_bf16 v[128:131], v[70:71], a[92:93], v[128:131]// 000000009EBC: D3E10080 1602B946
	v_perm_b32 v90, v47, v46, s63                              // 000000009EC4: D1ED005A 00FE5D2F
	v_perm_b32 v91, v47, v46, s64                              // 000000009ECC: D1ED005B 01025D2F
	v_mfma_f32_16x16x16_bf16 v[132:135], v[48:49], a[50:51], 0 // 000000009ED4: D3E10084 12026530
	ds_read_b128 v[100:103], v10 offset:10880                  // 000000009EDC: D9FE2A80 6400000A
	v_mov_b32_e32 v42, 0                                       // 000000009EE4: 7E540280
	s_mov_b64 exec, s[90:91]                                   // 000000009EE8: BEFE015A
	buffer_load_dword v42, v254, s[20:23], 0 idxen             // 000000009EEC: E0502000 80052AFE
	s_mov_b32 exec_lo, -1                                      // 000000009EF4: BEFE00C1
	s_mov_b32 exec_hi, -1                                      // 000000009EF8: BEFF00C1
	v_mfma_f32_16x16x16_bf16 v[132:135], v[50:51], a[54:55], v[132:135]// 000000009EFC: D3E10084 16126D32
	v_mov_b32_dpp v127, v124 quad_perm:[3,3,3,3] row_mask:0xf bank_mask:0xf// 000000009F04: 7EFE02FA FF00FF7C
	v_mov_b32_dpp v126, v124 quad_perm:[2,2,2,2] row_mask:0xf bank_mask:0xf// 000000009F0C: 7EFC02FA FF00AA7C
	v_mfma_f32_16x16x16_bf16 v[132:135], v[52:53], a[58:59], v[132:135]// 000000009F14: D3E10084 16127534
	ds_read_b128 v[104:107], v10 offset:11392                  // 000000009F1C: D9FE2C80 6800000A
	v_mov_b32_e32 v43, 0                                       // 000000009F24: 7E560280
	s_mov_b64 exec, s[90:91]                                   // 000000009F28: BEFE015A
	buffer_load_dword v43, v255, s[20:23], 0 idxen             // 000000009F2C: E0502000 80052BFF
	s_mov_b32 exec_lo, -1                                      // 000000009F34: BEFE00C1
	s_mov_b32 exec_hi, -1                                      // 000000009F38: BEFF00C1
	v_mfma_f32_16x16x16_bf16 v[132:135], v[54:55], a[62:63], v[132:135]// 000000009F3C: D3E10084 16127D36
	v_mov_b32_dpp v125, v124 quad_perm:[1,1,1,1] row_mask:0xf bank_mask:0xf// 000000009F44: 7EFA02FA FF00557C
	v_mov_b32_dpp v124, v124 quad_perm:[0,0,0,0] row_mask:0xf bank_mask:0xf// 000000009F4C: 7EF802FA FF00007C
	s_add_u32 s60, 64, s59                                     // 000000009F54: 803C3BC0
	v_mfma_f32_16x16x16_bf16 v[132:135], v[56:57], a[66:67], v[132:135]// 000000009F58: D3E10084 16128538
	buffer_load_dword v9, s[24:27], 0 idxen lds                // 000000009F60: E0512000 80060009
	v_mfma_f32_16x16x16_bf16 v[132:135], v[58:59], a[70:71], v[132:135]// 000000009F68: D3E10084 16128D3A
	s_cmp_lt_u32 s60, s58                                      // 000000009F70: BF0A3A3C
	s_cselect_b32 s68, s68, 0                                  // 000000009F74: 85448044
	s_cselect_b32 s99, s99, 0                                  // 000000009F78: 85638063
	s_cselect_b32 s69, s69, 0                                  // 000000009F7C: 85458045
	v_mfma_f32_16x16x16_bf16 v[132:135], v[60:61], a[74:75], v[132:135]// 000000009F80: D3E10084 1612953C
	v_add_u32_e32 v1, s68, v1                                  // 000000009F88: 68020244
	v_add_u32_e32 v2, s68, v2                                  // 000000009F8C: 68040444
	v_add_u32_e32 v3, s68, v3                                  // 000000009F90: 68060644
	v_add_u32_e32 v4, s68, v4                                  // 000000009F94: 68080844
	v_mfma_f32_16x16x16_bf16 v[132:135], v[62:63], a[78:79], v[132:135]// 000000009F98: D3E10084 16129D3E
	v_add_u32_e32 v252, s99, v252                              // 000000009FA0: 69F9F863
	v_add_u32_e32 v253, s99, v253                              // 000000009FA4: 69FBFA63
	v_add_u32_e32 v254, s99, v254                              // 000000009FA8: 69FDFC63
	v_add_u32_e32 v255, s99, v255                              // 000000009FAC: 69FFFE63
	v_mfma_f32_16x16x16_bf16 v[132:135], v[64:65], a[82:83], v[132:135]// 000000009FB0: D3E10084 1612A540
	s_mov_b32 m0, s81                                          // 000000009FB8: BEFC0051
	v_add_u32_e32 v9, s69, v9                                  // 000000009FBC: 68121245
	v_mfma_f32_16x16x16_bf16 v[132:135], v[66:67], a[86:87], v[132:135]// 000000009FC0: D3E10084 1612AD42
	s_cmp_ge_u32 s59, s73                                      // 000000009FC8: BF09493B
	s_cselect_b32 s66, s67, s66                                // 000000009FCC: 85424243
	v_mfma_f32_16x16x16_bf16 v[132:135], v[68:69], a[90:91], v[132:135]// 000000009FD0: D3E10084 1612B544
	s_addk_i32 s59, 0x10                                       // 000000009FD8: B73B0010
	s_nop 0                                                    // 000000009FDC: BF800000
	s_cmp_lt_i32 s59, s58                                      // 000000009FE0: BF043A3B
	v_mfma_f32_16x16x16_bf16 v[132:135], v[70:71], a[94:95], v[132:135]// 000000009FE4: D3E10084 1612BD46
	s_cbranch_scc0 label_1185                                  // 000000009FEC: BF84F8FF
	s_branch label_1188                                        // 000000009FF0: BF82F901

0000000000009ff4 <label_1891>:
	buffer_atomic_add_f32 v140, v7, s[32:35], 0 offen offset:256// 000000009FF4: E1341100 80088C07
	buffer_atomic_add_f32 v141, v8, s[32:35], 0 offen offset:256// 000000009FFC: E1341100 80088D08
	buffer_atomic_add_f32 v142, v7, s[32:35], 0 offen offset:384// 00000000A004: E1341180 80088E07
	buffer_atomic_add_f32 v143, v8, s[32:35], 0 offen offset:384// 00000000A00C: E1341180 80088F08
	v_add_u32_e32 v7, s66, v7                                  // 00000000A014: 680E0E42
	v_add_u32_e32 v8, s66, v8                                  // 00000000A018: 68101042
	v_lshrrev_b32_e32 v28, 5, v0                               // 00000000A01C: 20380085
	v_mul_i32_i24_e32 v25, 0x42, v28                           // 00000000A020: 0C3238FF 00000042
	v_and_b32_e32 v28, 31, v0                                  // 00000000A028: 2638009F
	v_mul_i32_i24_e32 v29, 2, v28                              // 00000000A02C: 0C3A3882
	v_add_u32_e32 v25, v29, v25                                // 00000000A030: 6832331D
	s_mul_i32 s60, s46, 0x420                                  // 00000000A034: 923CFF2E 00000420
	v_add_u32_e32 v25, s60, v25                                // 00000000A03C: 6832323C
	v_lshlrev_b32_e32 v25, 2, v25                              // 00000000A040: 24323282
	v_mul_f32_e32 v128, s47, v128                              // 00000000A044: 0B01002F
	v_mul_f32_e32 v129, s47, v129                              // 00000000A048: 0B03022F
	v_mul_f32_e32 v130, s47, v130                              // 00000000A04C: 0B05042F
	v_mul_f32_e32 v131, s47, v131                              // 00000000A050: 0B07062F
	v_mul_f32_e32 v132, s47, v132                              // 00000000A054: 0B09082F
	v_mul_f32_e32 v133, s47, v133                              // 00000000A058: 0B0B0A2F
	v_mul_f32_e32 v134, s47, v134                              // 00000000A05C: 0B0D0C2F
	v_mul_f32_e32 v135, s47, v135                              // 00000000A060: 0B0F0E2F
	ds_write_b64 v20, v[128:129] offset:24320                  // 00000000A064: D89A5F00 00008014
	ds_write_b64 v20, v[130:131] offset:24832                  // 00000000A06C: D89A6100 00008214
	ds_write_b64 v20, v[132:133] offset:25344                  // 00000000A074: D89A6300 00008414
	ds_write_b64 v20, v[134:135] offset:25856                  // 00000000A07C: D89A6500 00008614
	s_waitcnt lgkmcnt(0)                                       // 00000000A084: BF8CC07F
	s_barrier                                                  // 00000000A088: BF8A0000
	ds_read_b64 v[136:137], v19 offset:24320                   // 00000000A08C: D8EC5F00 88000013
	ds_read_b64 v[138:139], v19 offset:26368                   // 00000000A094: D8EC6700 8A000013
	ds_read_b64 v[140:141], v19 offset:28416                   // 00000000A09C: D8EC6F00 8C000013
	ds_read_b64 v[142:143], v19 offset:30464                   // 00000000A0A4: D8EC7700 8E000013
	s_waitcnt lgkmcnt(0)                                       // 00000000A0AC: BF8CC07F
	s_barrier                                                  // 00000000A0B0: BF8A0000
	buffer_atomic_add_f32 v136, v7, s[32:35], 0 offen          // 00000000A0B4: E1341000 80088807
	buffer_atomic_add_f32 v137, v8, s[32:35], 0 offen          // 00000000A0BC: E1341000 80088908
	buffer_atomic_add_f32 v138, v7, s[32:35], 0 offen offset:128// 00000000A0C4: E1341080 80088A07
	buffer_atomic_add_f32 v139, v8, s[32:35], 0 offen offset:128// 00000000A0CC: E1341080 80088B08
	buffer_atomic_add_f32 v140, v7, s[32:35], 0 offen offset:256// 00000000A0D4: E1341100 80088C07
	buffer_atomic_add_f32 v141, v8, s[32:35], 0 offen offset:256// 00000000A0DC: E1341100 80088D08
	buffer_atomic_add_f32 v142, v7, s[32:35], 0 offen offset:384// 00000000A0E4: E1341180 80088E07
	buffer_atomic_add_f32 v143, v8, s[32:35], 0 offen offset:384// 00000000A0EC: E1341180 80088F08
	v_lshrrev_b32_e32 v28, 4, v0                               // 00000000A0F4: 20380084
	v_mul_i32_i24_e32 v24, 2, v28                              // 00000000A0F8: 0C303882
	v_and_b32_e32 v28, 15, v0                                  // 00000000A0FC: 2638008F
	v_mul_i32_i24_e32 v29, 0x42, v28                           // 00000000A100: 0C3A38FF 00000042
	v_add_u32_e32 v24, v29, v24                                // 00000000A108: 6830311D
	s_mul_i32 s60, s46, 0x420                                  // 00000000A10C: 923CFF2E 00000420
	v_add_u32_e32 v24, s60, v24                                // 00000000A114: 6830303C
	v_lshlrev_b32_e32 v24, 2, v24                              // 00000000A118: 24303082
	v_and_b32_e32 v28, 15, v0                                  // 00000000A11C: 2638008F
	v_mov_b32_e32 v29, s98                                     // 00000000A120: 7E3A0262
	v_lshrrev_b32_e32 v29, 3, v29                              // 00000000A124: 203A3A83
	v_cmp_lt_u32_e64 s[92:93], v28, v29                        // 00000000A128: D0C9005C 00023B1C
	v_accvgpr_read_b32 v30, a160                               // 00000000A130: D3D8401E 180001A0
	v_accvgpr_read_b32 v31, a161                               // 00000000A138: D3D8401F 180001A1
	v_mul_f32_e32 v30, s47, v30                                // 00000000A140: 0A3C3C2F
	v_mul_f32_e32 v31, s47, v31                                // 00000000A144: 0A3E3E2F
	v_cmp_u_f32_e64 s[78:79], v30, v30                         // 00000000A148: D048004E 00023D1E
	v_bfe_u32 v248, v30, 16, 1                                 // 00000000A150: D1C800F8 0205211E
	v_add3_u32 v248, v30, v248, v251                           // 00000000A158: D1FF00F8 07EFF11E
	v_cndmask_b32_e64 v28, v248, v250, s[78:79]                // 00000000A160: D100001C 013BF5F8
	v_lshrrev_b32_e32 v28, 16, v28                             // 00000000A168: 20383890
	v_cmp_u_f32_e64 s[78:79], v31, v31                         // 00000000A16C: D048004E 00023F1F
	v_bfe_u32 v248, v31, 16, 1                                 // 00000000A174: D1C800F8 0205211F
	v_add3_u32 v248, v31, v248, v251                           // 00000000A17C: D1FF00F8 07EFF11F
	v_cndmask_b32_e64 v29, v248, v250, s[78:79]                // 00000000A184: D100001D 013BF5F8
	v_and_or_b32 v48, v29, v249, v28                           // 00000000A18C: D2010030 0473F31D
	v_accvgpr_read_b32 v30, a162                               // 00000000A194: D3D8401E 180001A2
	v_accvgpr_read_b32 v31, a163                               // 00000000A19C: D3D8401F 180001A3
	v_mul_f32_e32 v30, s47, v30                                // 00000000A1A4: 0A3C3C2F
	v_mul_f32_e32 v31, s47, v31                                // 00000000A1A8: 0A3E3E2F
	v_cmp_u_f32_e64 s[78:79], v30, v30                         // 00000000A1AC: D048004E 00023D1E
	v_bfe_u32 v248, v30, 16, 1                                 // 00000000A1B4: D1C800F8 0205211E
	v_add3_u32 v248, v30, v248, v251                           // 00000000A1BC: D1FF00F8 07EFF11E
	v_cndmask_b32_e64 v28, v248, v250, s[78:79]                // 00000000A1C4: D100001C 013BF5F8
	v_lshrrev_b32_e32 v28, 16, v28                             // 00000000A1CC: 20383890
	v_cmp_u_f32_e64 s[78:79], v31, v31                         // 00000000A1D0: D048004E 00023F1F
	v_bfe_u32 v248, v31, 16, 1                                 // 00000000A1D8: D1C800F8 0205211F
	v_add3_u32 v248, v31, v248, v251                           // 00000000A1E0: D1FF00F8 07EFF11F
	v_cndmask_b32_e64 v29, v248, v250, s[78:79]                // 00000000A1E8: D100001D 013BF5F8
	v_and_or_b32 v49, v29, v249, v28                           // 00000000A1F0: D2010031 0473F31D
	v_accvgpr_read_b32 v30, a164                               // 00000000A1F8: D3D8401E 180001A4
	v_accvgpr_read_b32 v31, a165                               // 00000000A200: D3D8401F 180001A5
	v_mul_f32_e32 v30, s47, v30                                // 00000000A208: 0A3C3C2F
	v_mul_f32_e32 v31, s47, v31                                // 00000000A20C: 0A3E3E2F
	v_cmp_u_f32_e64 s[78:79], v30, v30                         // 00000000A210: D048004E 00023D1E
	v_bfe_u32 v248, v30, 16, 1                                 // 00000000A218: D1C800F8 0205211E
	v_add3_u32 v248, v30, v248, v251                           // 00000000A220: D1FF00F8 07EFF11E
	v_cndmask_b32_e64 v28, v248, v250, s[78:79]                // 00000000A228: D100001C 013BF5F8
	v_lshrrev_b32_e32 v28, 16, v28                             // 00000000A230: 20383890
	v_cmp_u_f32_e64 s[78:79], v31, v31                         // 00000000A234: D048004E 00023F1F
	v_bfe_u32 v248, v31, 16, 1                                 // 00000000A23C: D1C800F8 0205211F
	v_add3_u32 v248, v31, v248, v251                           // 00000000A244: D1FF00F8 07EFF11F
	v_cndmask_b32_e64 v29, v248, v250, s[78:79]                // 00000000A24C: D100001D 013BF5F8
	v_and_or_b32 v50, v29, v249, v28                           // 00000000A254: D2010032 0473F31D
	v_accvgpr_read_b32 v30, a166                               // 00000000A25C: D3D8401E 180001A6
	v_accvgpr_read_b32 v31, a167                               // 00000000A264: D3D8401F 180001A7
	v_mul_f32_e32 v30, s47, v30                                // 00000000A26C: 0A3C3C2F
	v_mul_f32_e32 v31, s47, v31                                // 00000000A270: 0A3E3E2F
	v_cmp_u_f32_e64 s[78:79], v30, v30                         // 00000000A274: D048004E 00023D1E
	v_bfe_u32 v248, v30, 16, 1                                 // 00000000A27C: D1C800F8 0205211E
	v_add3_u32 v248, v30, v248, v251                           // 00000000A284: D1FF00F8 07EFF11E
	v_cndmask_b32_e64 v28, v248, v250, s[78:79]                // 00000000A28C: D100001C 013BF5F8
	v_lshrrev_b32_e32 v28, 16, v28                             // 00000000A294: 20383890
	v_cmp_u_f32_e64 s[78:79], v31, v31                         // 00000000A298: D048004E 00023F1F
	v_bfe_u32 v248, v31, 16, 1                                 // 00000000A2A0: D1C800F8 0205211F
	v_add3_u32 v248, v31, v248, v251                           // 00000000A2A8: D1FF00F8 07EFF11F
	v_cndmask_b32_e64 v29, v248, v250, s[78:79]                // 00000000A2B0: D100001D 013BF5F8
	v_and_or_b32 v51, v29, v249, v28                           // 00000000A2B8: D2010033 0473F31D
	v_accvgpr_read_b32 v30, a168                               // 00000000A2C0: D3D8401E 180001A8
	v_accvgpr_read_b32 v31, a169                               // 00000000A2C8: D3D8401F 180001A9
	v_mul_f32_e32 v30, s47, v30                                // 00000000A2D0: 0A3C3C2F
	v_mul_f32_e32 v31, s47, v31                                // 00000000A2D4: 0A3E3E2F
	v_cmp_u_f32_e64 s[78:79], v30, v30                         // 00000000A2D8: D048004E 00023D1E
	v_bfe_u32 v248, v30, 16, 1                                 // 00000000A2E0: D1C800F8 0205211E
	v_add3_u32 v248, v30, v248, v251                           // 00000000A2E8: D1FF00F8 07EFF11E
	v_cndmask_b32_e64 v28, v248, v250, s[78:79]                // 00000000A2F0: D100001C 013BF5F8
	v_lshrrev_b32_e32 v28, 16, v28                             // 00000000A2F8: 20383890
	v_cmp_u_f32_e64 s[78:79], v31, v31                         // 00000000A2FC: D048004E 00023F1F
	v_bfe_u32 v248, v31, 16, 1                                 // 00000000A304: D1C800F8 0205211F
	v_add3_u32 v248, v31, v248, v251                           // 00000000A30C: D1FF00F8 07EFF11F
	v_cndmask_b32_e64 v29, v248, v250, s[78:79]                // 00000000A314: D100001D 013BF5F8
	v_and_or_b32 v52, v29, v249, v28                           // 00000000A31C: D2010034 0473F31D
	v_accvgpr_read_b32 v30, a170                               // 00000000A324: D3D8401E 180001AA
	v_accvgpr_read_b32 v31, a171                               // 00000000A32C: D3D8401F 180001AB
	v_mul_f32_e32 v30, s47, v30                                // 00000000A334: 0A3C3C2F
	v_mul_f32_e32 v31, s47, v31                                // 00000000A338: 0A3E3E2F
	v_cmp_u_f32_e64 s[78:79], v30, v30                         // 00000000A33C: D048004E 00023D1E
	v_bfe_u32 v248, v30, 16, 1                                 // 00000000A344: D1C800F8 0205211E
	v_add3_u32 v248, v30, v248, v251                           // 00000000A34C: D1FF00F8 07EFF11E
	v_cndmask_b32_e64 v28, v248, v250, s[78:79]                // 00000000A354: D100001C 013BF5F8
	v_lshrrev_b32_e32 v28, 16, v28                             // 00000000A35C: 20383890
	v_cmp_u_f32_e64 s[78:79], v31, v31                         // 00000000A360: D048004E 00023F1F
	v_bfe_u32 v248, v31, 16, 1                                 // 00000000A368: D1C800F8 0205211F
	v_add3_u32 v248, v31, v248, v251                           // 00000000A370: D1FF00F8 07EFF11F
	v_cndmask_b32_e64 v29, v248, v250, s[78:79]                // 00000000A378: D100001D 013BF5F8
	v_and_or_b32 v53, v29, v249, v28                           // 00000000A380: D2010035 0473F31D
	v_accvgpr_read_b32 v30, a172                               // 00000000A388: D3D8401E 180001AC
	v_accvgpr_read_b32 v31, a173                               // 00000000A390: D3D8401F 180001AD
	v_mul_f32_e32 v30, s47, v30                                // 00000000A398: 0A3C3C2F
	v_mul_f32_e32 v31, s47, v31                                // 00000000A39C: 0A3E3E2F
	v_cmp_u_f32_e64 s[78:79], v30, v30                         // 00000000A3A0: D048004E 00023D1E
	v_bfe_u32 v248, v30, 16, 1                                 // 00000000A3A8: D1C800F8 0205211E
	v_add3_u32 v248, v30, v248, v251                           // 00000000A3B0: D1FF00F8 07EFF11E
	v_cndmask_b32_e64 v28, v248, v250, s[78:79]                // 00000000A3B8: D100001C 013BF5F8
	v_lshrrev_b32_e32 v28, 16, v28                             // 00000000A3C0: 20383890
	v_cmp_u_f32_e64 s[78:79], v31, v31                         // 00000000A3C4: D048004E 00023F1F
	v_bfe_u32 v248, v31, 16, 1                                 // 00000000A3CC: D1C800F8 0205211F
	v_add3_u32 v248, v31, v248, v251                           // 00000000A3D4: D1FF00F8 07EFF11F
	v_cndmask_b32_e64 v29, v248, v250, s[78:79]                // 00000000A3DC: D100001D 013BF5F8
	v_and_or_b32 v54, v29, v249, v28                           // 00000000A3E4: D2010036 0473F31D
	v_accvgpr_read_b32 v30, a174                               // 00000000A3EC: D3D8401E 180001AE
	v_accvgpr_read_b32 v31, a175                               // 00000000A3F4: D3D8401F 180001AF
	v_mul_f32_e32 v30, s47, v30                                // 00000000A3FC: 0A3C3C2F
	v_mul_f32_e32 v31, s47, v31                                // 00000000A400: 0A3E3E2F
	v_cmp_u_f32_e64 s[78:79], v30, v30                         // 00000000A404: D048004E 00023D1E
	v_bfe_u32 v248, v30, 16, 1                                 // 00000000A40C: D1C800F8 0205211E
	v_add3_u32 v248, v30, v248, v251                           // 00000000A414: D1FF00F8 07EFF11E
	v_cndmask_b32_e64 v28, v248, v250, s[78:79]                // 00000000A41C: D100001C 013BF5F8
	v_lshrrev_b32_e32 v28, 16, v28                             // 00000000A424: 20383890
	v_cmp_u_f32_e64 s[78:79], v31, v31                         // 00000000A428: D048004E 00023F1F
	v_bfe_u32 v248, v31, 16, 1                                 // 00000000A430: D1C800F8 0205211F
	v_add3_u32 v248, v31, v248, v251                           // 00000000A438: D1FF00F8 07EFF11F
	v_cndmask_b32_e64 v29, v248, v250, s[78:79]                // 00000000A440: D100001D 013BF5F8
	v_and_or_b32 v55, v29, v249, v28                           // 00000000A448: D2010037 0473F31D
	v_accvgpr_read_b32 v30, a176                               // 00000000A450: D3D8401E 180001B0
	v_accvgpr_read_b32 v31, a177                               // 00000000A458: D3D8401F 180001B1
	v_mul_f32_e32 v30, s47, v30                                // 00000000A460: 0A3C3C2F
	v_mul_f32_e32 v31, s47, v31                                // 00000000A464: 0A3E3E2F
	v_cmp_u_f32_e64 s[78:79], v30, v30                         // 00000000A468: D048004E 00023D1E
	v_bfe_u32 v248, v30, 16, 1                                 // 00000000A470: D1C800F8 0205211E
	v_add3_u32 v248, v30, v248, v251                           // 00000000A478: D1FF00F8 07EFF11E
	v_cndmask_b32_e64 v28, v248, v250, s[78:79]                // 00000000A480: D100001C 013BF5F8
	v_lshrrev_b32_e32 v28, 16, v28                             // 00000000A488: 20383890
	v_cmp_u_f32_e64 s[78:79], v31, v31                         // 00000000A48C: D048004E 00023F1F
	v_bfe_u32 v248, v31, 16, 1                                 // 00000000A494: D1C800F8 0205211F
	v_add3_u32 v248, v31, v248, v251                           // 00000000A49C: D1FF00F8 07EFF11F
	v_cndmask_b32_e64 v29, v248, v250, s[78:79]                // 00000000A4A4: D100001D 013BF5F8
	v_and_or_b32 v56, v29, v249, v28                           // 00000000A4AC: D2010038 0473F31D
	v_accvgpr_read_b32 v30, a178                               // 00000000A4B4: D3D8401E 180001B2
	v_accvgpr_read_b32 v31, a179                               // 00000000A4BC: D3D8401F 180001B3
	v_mul_f32_e32 v30, s47, v30                                // 00000000A4C4: 0A3C3C2F
	v_mul_f32_e32 v31, s47, v31                                // 00000000A4C8: 0A3E3E2F
	v_cmp_u_f32_e64 s[78:79], v30, v30                         // 00000000A4CC: D048004E 00023D1E
	v_bfe_u32 v248, v30, 16, 1                                 // 00000000A4D4: D1C800F8 0205211E
	v_add3_u32 v248, v30, v248, v251                           // 00000000A4DC: D1FF00F8 07EFF11E
	v_cndmask_b32_e64 v28, v248, v250, s[78:79]                // 00000000A4E4: D100001C 013BF5F8
	v_lshrrev_b32_e32 v28, 16, v28                             // 00000000A4EC: 20383890
	v_cmp_u_f32_e64 s[78:79], v31, v31                         // 00000000A4F0: D048004E 00023F1F
	v_bfe_u32 v248, v31, 16, 1                                 // 00000000A4F8: D1C800F8 0205211F
	v_add3_u32 v248, v31, v248, v251                           // 00000000A500: D1FF00F8 07EFF11F
	v_cndmask_b32_e64 v29, v248, v250, s[78:79]                // 00000000A508: D100001D 013BF5F8
	v_and_or_b32 v57, v29, v249, v28                           // 00000000A510: D2010039 0473F31D
	v_accvgpr_read_b32 v30, a180                               // 00000000A518: D3D8401E 180001B4
	v_accvgpr_read_b32 v31, a181                               // 00000000A520: D3D8401F 180001B5
	v_mul_f32_e32 v30, s47, v30                                // 00000000A528: 0A3C3C2F
	v_mul_f32_e32 v31, s47, v31                                // 00000000A52C: 0A3E3E2F
	v_cmp_u_f32_e64 s[78:79], v30, v30                         // 00000000A530: D048004E 00023D1E
	v_bfe_u32 v248, v30, 16, 1                                 // 00000000A538: D1C800F8 0205211E
	v_add3_u32 v248, v30, v248, v251                           // 00000000A540: D1FF00F8 07EFF11E
	v_cndmask_b32_e64 v28, v248, v250, s[78:79]                // 00000000A548: D100001C 013BF5F8
	v_lshrrev_b32_e32 v28, 16, v28                             // 00000000A550: 20383890
	v_cmp_u_f32_e64 s[78:79], v31, v31                         // 00000000A554: D048004E 00023F1F
	v_bfe_u32 v248, v31, 16, 1                                 // 00000000A55C: D1C800F8 0205211F
	v_add3_u32 v248, v31, v248, v251                           // 00000000A564: D1FF00F8 07EFF11F
	v_cndmask_b32_e64 v29, v248, v250, s[78:79]                // 00000000A56C: D100001D 013BF5F8
	v_and_or_b32 v58, v29, v249, v28                           // 00000000A574: D201003A 0473F31D
	v_accvgpr_read_b32 v30, a182                               // 00000000A57C: D3D8401E 180001B6
	v_accvgpr_read_b32 v31, a183                               // 00000000A584: D3D8401F 180001B7
	v_mul_f32_e32 v30, s47, v30                                // 00000000A58C: 0A3C3C2F
	v_mul_f32_e32 v31, s47, v31                                // 00000000A590: 0A3E3E2F
	v_cmp_u_f32_e64 s[78:79], v30, v30                         // 00000000A594: D048004E 00023D1E
	v_bfe_u32 v248, v30, 16, 1                                 // 00000000A59C: D1C800F8 0205211E
	v_add3_u32 v248, v30, v248, v251                           // 00000000A5A4: D1FF00F8 07EFF11E
	v_cndmask_b32_e64 v28, v248, v250, s[78:79]                // 00000000A5AC: D100001C 013BF5F8
	v_lshrrev_b32_e32 v28, 16, v28                             // 00000000A5B4: 20383890
	v_cmp_u_f32_e64 s[78:79], v31, v31                         // 00000000A5B8: D048004E 00023F1F
	v_bfe_u32 v248, v31, 16, 1                                 // 00000000A5C0: D1C800F8 0205211F
	v_add3_u32 v248, v31, v248, v251                           // 00000000A5C8: D1FF00F8 07EFF11F
	v_cndmask_b32_e64 v29, v248, v250, s[78:79]                // 00000000A5D0: D100001D 013BF5F8
	v_and_or_b32 v59, v29, v249, v28                           // 00000000A5D8: D201003B 0473F31D
	v_accvgpr_read_b32 v30, a184                               // 00000000A5E0: D3D8401E 180001B8
	v_accvgpr_read_b32 v31, a185                               // 00000000A5E8: D3D8401F 180001B9
	v_mul_f32_e32 v30, s47, v30                                // 00000000A5F0: 0A3C3C2F
	v_mul_f32_e32 v31, s47, v31                                // 00000000A5F4: 0A3E3E2F
	v_cmp_u_f32_e64 s[78:79], v30, v30                         // 00000000A5F8: D048004E 00023D1E
	v_bfe_u32 v248, v30, 16, 1                                 // 00000000A600: D1C800F8 0205211E
	v_add3_u32 v248, v30, v248, v251                           // 00000000A608: D1FF00F8 07EFF11E
	v_cndmask_b32_e64 v28, v248, v250, s[78:79]                // 00000000A610: D100001C 013BF5F8
	v_lshrrev_b32_e32 v28, 16, v28                             // 00000000A618: 20383890
	v_cmp_u_f32_e64 s[78:79], v31, v31                         // 00000000A61C: D048004E 00023F1F
	v_bfe_u32 v248, v31, 16, 1                                 // 00000000A624: D1C800F8 0205211F
	v_add3_u32 v248, v31, v248, v251                           // 00000000A62C: D1FF00F8 07EFF11F
	v_cndmask_b32_e64 v29, v248, v250, s[78:79]                // 00000000A634: D100001D 013BF5F8
	v_and_or_b32 v60, v29, v249, v28                           // 00000000A63C: D201003C 0473F31D
	v_accvgpr_read_b32 v30, a186                               // 00000000A644: D3D8401E 180001BA
	v_accvgpr_read_b32 v31, a187                               // 00000000A64C: D3D8401F 180001BB
	v_mul_f32_e32 v30, s47, v30                                // 00000000A654: 0A3C3C2F
	v_mul_f32_e32 v31, s47, v31                                // 00000000A658: 0A3E3E2F
	v_cmp_u_f32_e64 s[78:79], v30, v30                         // 00000000A65C: D048004E 00023D1E
	v_bfe_u32 v248, v30, 16, 1                                 // 00000000A664: D1C800F8 0205211E
	v_add3_u32 v248, v30, v248, v251                           // 00000000A66C: D1FF00F8 07EFF11E
	v_cndmask_b32_e64 v28, v248, v250, s[78:79]                // 00000000A674: D100001C 013BF5F8
	v_lshrrev_b32_e32 v28, 16, v28                             // 00000000A67C: 20383890
	v_cmp_u_f32_e64 s[78:79], v31, v31                         // 00000000A680: D048004E 00023F1F
	v_bfe_u32 v248, v31, 16, 1                                 // 00000000A688: D1C800F8 0205211F
	v_add3_u32 v248, v31, v248, v251                           // 00000000A690: D1FF00F8 07EFF11F
	v_cndmask_b32_e64 v29, v248, v250, s[78:79]                // 00000000A698: D100001D 013BF5F8
	v_and_or_b32 v61, v29, v249, v28                           // 00000000A6A0: D201003D 0473F31D
	v_accvgpr_read_b32 v30, a188                               // 00000000A6A8: D3D8401E 180001BC
	v_accvgpr_read_b32 v31, a189                               // 00000000A6B0: D3D8401F 180001BD
	v_mul_f32_e32 v30, s47, v30                                // 00000000A6B8: 0A3C3C2F
	v_mul_f32_e32 v31, s47, v31                                // 00000000A6BC: 0A3E3E2F
	v_cmp_u_f32_e64 s[78:79], v30, v30                         // 00000000A6C0: D048004E 00023D1E
	v_bfe_u32 v248, v30, 16, 1                                 // 00000000A6C8: D1C800F8 0205211E
	v_add3_u32 v248, v30, v248, v251                           // 00000000A6D0: D1FF00F8 07EFF11E
	v_cndmask_b32_e64 v28, v248, v250, s[78:79]                // 00000000A6D8: D100001C 013BF5F8
	v_lshrrev_b32_e32 v28, 16, v28                             // 00000000A6E0: 20383890
	v_cmp_u_f32_e64 s[78:79], v31, v31                         // 00000000A6E4: D048004E 00023F1F
	v_bfe_u32 v248, v31, 16, 1                                 // 00000000A6EC: D1C800F8 0205211F
	v_add3_u32 v248, v31, v248, v251                           // 00000000A6F4: D1FF00F8 07EFF11F
	v_cndmask_b32_e64 v29, v248, v250, s[78:79]                // 00000000A6FC: D100001D 013BF5F8
	v_and_or_b32 v62, v29, v249, v28                           // 00000000A704: D201003E 0473F31D
	v_accvgpr_read_b32 v30, a190                               // 00000000A70C: D3D8401E 180001BE
	v_accvgpr_read_b32 v31, a191                               // 00000000A714: D3D8401F 180001BF
	v_mul_f32_e32 v30, s47, v30                                // 00000000A71C: 0A3C3C2F
	v_mul_f32_e32 v31, s47, v31                                // 00000000A720: 0A3E3E2F
	v_cmp_u_f32_e64 s[78:79], v30, v30                         // 00000000A724: D048004E 00023D1E
	v_bfe_u32 v248, v30, 16, 1                                 // 00000000A72C: D1C800F8 0205211E
	v_add3_u32 v248, v30, v248, v251                           // 00000000A734: D1FF00F8 07EFF11E
	v_cndmask_b32_e64 v28, v248, v250, s[78:79]                // 00000000A73C: D100001C 013BF5F8
	v_lshrrev_b32_e32 v28, 16, v28                             // 00000000A744: 20383890
	v_cmp_u_f32_e64 s[78:79], v31, v31                         // 00000000A748: D048004E 00023F1F
	v_bfe_u32 v248, v31, 16, 1                                 // 00000000A750: D1C800F8 0205211F
	v_add3_u32 v248, v31, v248, v251                           // 00000000A758: D1FF00F8 07EFF11F
	v_cndmask_b32_e64 v29, v248, v250, s[78:79]                // 00000000A760: D100001D 013BF5F8
	v_and_or_b32 v63, v29, v249, v28                           // 00000000A768: D201003F 0473F31D
	ds_write_b64 v25, v[48:49]                                 // 00000000A770: D89A0000 00003019
	ds_write_b64 v25, v[50:51] offset:528                      // 00000000A778: D89A0210 00003219
	ds_write_b64 v25, v[52:53] offset:1056                     // 00000000A780: D89A0420 00003419
	ds_write_b64 v25, v[54:55] offset:1584                     // 00000000A788: D89A0630 00003619
	ds_write_b64 v25, v[56:57] offset:2112                     // 00000000A790: D89A0840 00003819
	ds_write_b64 v25, v[58:59] offset:2640                     // 00000000A798: D89A0A50 00003A19
	ds_write_b64 v25, v[60:61] offset:3168                     // 00000000A7A0: D89A0C60 00003C19
	ds_write_b64 v25, v[62:63] offset:3696                     // 00000000A7A8: D89A0E70 00003E19
	s_waitcnt lgkmcnt(0)                                       // 00000000A7B0: BF8CC07F
	s_barrier                                                  // 00000000A7B4: BF8A0000
	ds_read_b64 v[48:49], v24                                  // 00000000A7B8: D8EC0000 30000018
	ds_read_b64 v[50:51], v24 offset:128                       // 00000000A7C0: D8EC0080 32000018
	ds_read_b64 v[52:53], v24 offset:32                        // 00000000A7C8: D8EC0020 34000018
	ds_read_b64 v[54:55], v24 offset:160                       // 00000000A7D0: D8EC00A0 36000018
	ds_read_b64 v[56:57], v24 offset:64                        // 00000000A7D8: D8EC0040 38000018
	ds_read_b64 v[58:59], v24 offset:192                       // 00000000A7E0: D8EC00C0 3A000018
	ds_read_b64 v[60:61], v24 offset:96                        // 00000000A7E8: D8EC0060 3C000018
	ds_read_b64 v[62:63], v24 offset:224                       // 00000000A7F0: D8EC00E0 3E000018
	s_waitcnt lgkmcnt(0)                                       // 00000000A7F8: BF8CC07F
	s_mov_b32 s70, s52                                         // 00000000A7FC: BEC60034
	s_mov_b64 exec, s[92:93]                                   // 00000000A800: BEFE015C
	buffer_store_dwordx4 v[48:51], v5, s[36:39], 0 idxen       // 00000000A804: E07C2000 80093005
	s_mov_b32 exec_lo, -1                                      // 00000000A80C: BEFE00C1
	s_mov_b32 exec_hi, -1                                      // 00000000A810: BEFF00C1
	v_add_u32_e32 v5, s70, v5                                  // 00000000A814: 680A0A46
	s_mov_b64 exec, s[92:93]                                   // 00000000A818: BEFE015C
	buffer_store_dwordx4 v[52:55], v5, s[36:39], 0 idxen       // 00000000A81C: E07C2000 80093405
	s_mov_b32 exec_lo, -1                                      // 00000000A824: BEFE00C1
	s_mov_b32 exec_hi, -1                                      // 00000000A828: BEFF00C1
	v_add_u32_e32 v5, s70, v5                                  // 00000000A82C: 680A0A46
	s_mov_b64 exec, s[92:93]                                   // 00000000A830: BEFE015C
	buffer_store_dwordx4 v[56:59], v5, s[36:39], 0 idxen       // 00000000A834: E07C2000 80093805
	s_mov_b32 exec_lo, -1                                      // 00000000A83C: BEFE00C1
	s_mov_b32 exec_hi, -1                                      // 00000000A840: BEFF00C1
	v_add_u32_e32 v5, s70, v5                                  // 00000000A844: 680A0A46
	s_mov_b64 exec, s[92:93]                                   // 00000000A848: BEFE015C
	buffer_store_dwordx4 v[60:63], v5, s[36:39], 0 idxen       // 00000000A84C: E07C2000 80093C05
	s_mov_b32 exec_lo, -1                                      // 00000000A854: BEFE00C1
	s_mov_b32 exec_hi, -1                                      // 00000000A858: BEFF00C1
	v_add_u32_e32 v5, s70, v5                                  // 00000000A85C: 680A0A46
	s_mul_i32 s60, 12, s70                                     // 00000000A860: 923C468C
	v_add_u32_e32 v5, s60, v5                                  // 00000000A864: 680A0A3C
	s_barrier                                                  // 00000000A868: BF8A0000
	s_cmp_ge_i32 1, s72                                        // 00000000A86C: BF034881
	s_cbranch_scc1 label_1E53                                  // 00000000A870: BF8503A2
	v_accvgpr_read_b32 v30, a192                               // 00000000A874: D3D8401E 180001C0
	v_accvgpr_read_b32 v31, a193                               // 00000000A87C: D3D8401F 180001C1
	v_mul_f32_e32 v30, s47, v30                                // 00000000A884: 0A3C3C2F
	v_mul_f32_e32 v31, s47, v31                                // 00000000A888: 0A3E3E2F
	v_cmp_u_f32_e64 s[78:79], v30, v30                         // 00000000A88C: D048004E 00023D1E
	v_bfe_u32 v248, v30, 16, 1                                 // 00000000A894: D1C800F8 0205211E
	v_add3_u32 v248, v30, v248, v251                           // 00000000A89C: D1FF00F8 07EFF11E
	v_cndmask_b32_e64 v28, v248, v250, s[78:79]                // 00000000A8A4: D100001C 013BF5F8
	v_lshrrev_b32_e32 v28, 16, v28                             // 00000000A8AC: 20383890
	v_cmp_u_f32_e64 s[78:79], v31, v31                         // 00000000A8B0: D048004E 00023F1F
	v_bfe_u32 v248, v31, 16, 1                                 // 00000000A8B8: D1C800F8 0205211F
	v_add3_u32 v248, v31, v248, v251                           // 00000000A8C0: D1FF00F8 07EFF11F
	v_cndmask_b32_e64 v29, v248, v250, s[78:79]                // 00000000A8C8: D100001D 013BF5F8
	v_and_or_b32 v64, v29, v249, v28                           // 00000000A8D0: D2010040 0473F31D
	v_accvgpr_read_b32 v30, a194                               // 00000000A8D8: D3D8401E 180001C2
	v_accvgpr_read_b32 v31, a195                               // 00000000A8E0: D3D8401F 180001C3
	v_mul_f32_e32 v30, s47, v30                                // 00000000A8E8: 0A3C3C2F
	v_mul_f32_e32 v31, s47, v31                                // 00000000A8EC: 0A3E3E2F
	v_cmp_u_f32_e64 s[78:79], v30, v30                         // 00000000A8F0: D048004E 00023D1E
	v_bfe_u32 v248, v30, 16, 1                                 // 00000000A8F8: D1C800F8 0205211E
	v_add3_u32 v248, v30, v248, v251                           // 00000000A900: D1FF00F8 07EFF11E
	v_cndmask_b32_e64 v28, v248, v250, s[78:79]                // 00000000A908: D100001C 013BF5F8
	v_lshrrev_b32_e32 v28, 16, v28                             // 00000000A910: 20383890
	v_cmp_u_f32_e64 s[78:79], v31, v31                         // 00000000A914: D048004E 00023F1F
	v_bfe_u32 v248, v31, 16, 1                                 // 00000000A91C: D1C800F8 0205211F
	v_add3_u32 v248, v31, v248, v251                           // 00000000A924: D1FF00F8 07EFF11F
	v_cndmask_b32_e64 v29, v248, v250, s[78:79]                // 00000000A92C: D100001D 013BF5F8
	v_and_or_b32 v65, v29, v249, v28                           // 00000000A934: D2010041 0473F31D
	v_accvgpr_read_b32 v30, a196                               // 00000000A93C: D3D8401E 180001C4
	v_accvgpr_read_b32 v31, a197                               // 00000000A944: D3D8401F 180001C5
	v_mul_f32_e32 v30, s47, v30                                // 00000000A94C: 0A3C3C2F
	v_mul_f32_e32 v31, s47, v31                                // 00000000A950: 0A3E3E2F
	v_cmp_u_f32_e64 s[78:79], v30, v30                         // 00000000A954: D048004E 00023D1E
	v_bfe_u32 v248, v30, 16, 1                                 // 00000000A95C: D1C800F8 0205211E
	v_add3_u32 v248, v30, v248, v251                           // 00000000A964: D1FF00F8 07EFF11E
	v_cndmask_b32_e64 v28, v248, v250, s[78:79]                // 00000000A96C: D100001C 013BF5F8
	v_lshrrev_b32_e32 v28, 16, v28                             // 00000000A974: 20383890
	v_cmp_u_f32_e64 s[78:79], v31, v31                         // 00000000A978: D048004E 00023F1F
	v_bfe_u32 v248, v31, 16, 1                                 // 00000000A980: D1C800F8 0205211F
	v_add3_u32 v248, v31, v248, v251                           // 00000000A988: D1FF00F8 07EFF11F
	v_cndmask_b32_e64 v29, v248, v250, s[78:79]                // 00000000A990: D100001D 013BF5F8
	v_and_or_b32 v66, v29, v249, v28                           // 00000000A998: D2010042 0473F31D
	v_accvgpr_read_b32 v30, a198                               // 00000000A9A0: D3D8401E 180001C6
	v_accvgpr_read_b32 v31, a199                               // 00000000A9A8: D3D8401F 180001C7
	v_mul_f32_e32 v30, s47, v30                                // 00000000A9B0: 0A3C3C2F
	v_mul_f32_e32 v31, s47, v31                                // 00000000A9B4: 0A3E3E2F
	v_cmp_u_f32_e64 s[78:79], v30, v30                         // 00000000A9B8: D048004E 00023D1E
	v_bfe_u32 v248, v30, 16, 1                                 // 00000000A9C0: D1C800F8 0205211E
	v_add3_u32 v248, v30, v248, v251                           // 00000000A9C8: D1FF00F8 07EFF11E
	v_cndmask_b32_e64 v28, v248, v250, s[78:79]                // 00000000A9D0: D100001C 013BF5F8
	v_lshrrev_b32_e32 v28, 16, v28                             // 00000000A9D8: 20383890
	v_cmp_u_f32_e64 s[78:79], v31, v31                         // 00000000A9DC: D048004E 00023F1F
	v_bfe_u32 v248, v31, 16, 1                                 // 00000000A9E4: D1C800F8 0205211F
	v_add3_u32 v248, v31, v248, v251                           // 00000000A9EC: D1FF00F8 07EFF11F
	v_cndmask_b32_e64 v29, v248, v250, s[78:79]                // 00000000A9F4: D100001D 013BF5F8
	v_and_or_b32 v67, v29, v249, v28                           // 00000000A9FC: D2010043 0473F31D
	v_accvgpr_read_b32 v30, a200                               // 00000000AA04: D3D8401E 180001C8
	v_accvgpr_read_b32 v31, a201                               // 00000000AA0C: D3D8401F 180001C9
	v_mul_f32_e32 v30, s47, v30                                // 00000000AA14: 0A3C3C2F
	v_mul_f32_e32 v31, s47, v31                                // 00000000AA18: 0A3E3E2F
	v_cmp_u_f32_e64 s[78:79], v30, v30                         // 00000000AA1C: D048004E 00023D1E
	v_bfe_u32 v248, v30, 16, 1                                 // 00000000AA24: D1C800F8 0205211E
	v_add3_u32 v248, v30, v248, v251                           // 00000000AA2C: D1FF00F8 07EFF11E
	v_cndmask_b32_e64 v28, v248, v250, s[78:79]                // 00000000AA34: D100001C 013BF5F8
	v_lshrrev_b32_e32 v28, 16, v28                             // 00000000AA3C: 20383890
	v_cmp_u_f32_e64 s[78:79], v31, v31                         // 00000000AA40: D048004E 00023F1F
	v_bfe_u32 v248, v31, 16, 1                                 // 00000000AA48: D1C800F8 0205211F
	v_add3_u32 v248, v31, v248, v251                           // 00000000AA50: D1FF00F8 07EFF11F
	v_cndmask_b32_e64 v29, v248, v250, s[78:79]                // 00000000AA58: D100001D 013BF5F8
	v_and_or_b32 v68, v29, v249, v28                           // 00000000AA60: D2010044 0473F31D
	v_accvgpr_read_b32 v30, a202                               // 00000000AA68: D3D8401E 180001CA
	v_accvgpr_read_b32 v31, a203                               // 00000000AA70: D3D8401F 180001CB
	v_mul_f32_e32 v30, s47, v30                                // 00000000AA78: 0A3C3C2F
	v_mul_f32_e32 v31, s47, v31                                // 00000000AA7C: 0A3E3E2F
	v_cmp_u_f32_e64 s[78:79], v30, v30                         // 00000000AA80: D048004E 00023D1E
	v_bfe_u32 v248, v30, 16, 1                                 // 00000000AA88: D1C800F8 0205211E
	v_add3_u32 v248, v30, v248, v251                           // 00000000AA90: D1FF00F8 07EFF11E
	v_cndmask_b32_e64 v28, v248, v250, s[78:79]                // 00000000AA98: D100001C 013BF5F8
	v_lshrrev_b32_e32 v28, 16, v28                             // 00000000AAA0: 20383890
	v_cmp_u_f32_e64 s[78:79], v31, v31                         // 00000000AAA4: D048004E 00023F1F
	v_bfe_u32 v248, v31, 16, 1                                 // 00000000AAAC: D1C800F8 0205211F
	v_add3_u32 v248, v31, v248, v251                           // 00000000AAB4: D1FF00F8 07EFF11F
	v_cndmask_b32_e64 v29, v248, v250, s[78:79]                // 00000000AABC: D100001D 013BF5F8
	v_and_or_b32 v69, v29, v249, v28                           // 00000000AAC4: D2010045 0473F31D
	v_accvgpr_read_b32 v30, a204                               // 00000000AACC: D3D8401E 180001CC
	v_accvgpr_read_b32 v31, a205                               // 00000000AAD4: D3D8401F 180001CD
	v_mul_f32_e32 v30, s47, v30                                // 00000000AADC: 0A3C3C2F
	v_mul_f32_e32 v31, s47, v31                                // 00000000AAE0: 0A3E3E2F
	v_cmp_u_f32_e64 s[78:79], v30, v30                         // 00000000AAE4: D048004E 00023D1E
	v_bfe_u32 v248, v30, 16, 1                                 // 00000000AAEC: D1C800F8 0205211E
	v_add3_u32 v248, v30, v248, v251                           // 00000000AAF4: D1FF00F8 07EFF11E
	v_cndmask_b32_e64 v28, v248, v250, s[78:79]                // 00000000AAFC: D100001C 013BF5F8
	v_lshrrev_b32_e32 v28, 16, v28                             // 00000000AB04: 20383890
	v_cmp_u_f32_e64 s[78:79], v31, v31                         // 00000000AB08: D048004E 00023F1F
	v_bfe_u32 v248, v31, 16, 1                                 // 00000000AB10: D1C800F8 0205211F
	v_add3_u32 v248, v31, v248, v251                           // 00000000AB18: D1FF00F8 07EFF11F
	v_cndmask_b32_e64 v29, v248, v250, s[78:79]                // 00000000AB20: D100001D 013BF5F8
	v_and_or_b32 v70, v29, v249, v28                           // 00000000AB28: D2010046 0473F31D
	v_accvgpr_read_b32 v30, a206                               // 00000000AB30: D3D8401E 180001CE
	v_accvgpr_read_b32 v31, a207                               // 00000000AB38: D3D8401F 180001CF
	v_mul_f32_e32 v30, s47, v30                                // 00000000AB40: 0A3C3C2F
	v_mul_f32_e32 v31, s47, v31                                // 00000000AB44: 0A3E3E2F
	v_cmp_u_f32_e64 s[78:79], v30, v30                         // 00000000AB48: D048004E 00023D1E
	v_bfe_u32 v248, v30, 16, 1                                 // 00000000AB50: D1C800F8 0205211E
	v_add3_u32 v248, v30, v248, v251                           // 00000000AB58: D1FF00F8 07EFF11E
	v_cndmask_b32_e64 v28, v248, v250, s[78:79]                // 00000000AB60: D100001C 013BF5F8
	v_lshrrev_b32_e32 v28, 16, v28                             // 00000000AB68: 20383890
	v_cmp_u_f32_e64 s[78:79], v31, v31                         // 00000000AB6C: D048004E 00023F1F
	v_bfe_u32 v248, v31, 16, 1                                 // 00000000AB74: D1C800F8 0205211F
	v_add3_u32 v248, v31, v248, v251                           // 00000000AB7C: D1FF00F8 07EFF11F
	v_cndmask_b32_e64 v29, v248, v250, s[78:79]                // 00000000AB84: D100001D 013BF5F8
	v_and_or_b32 v71, v29, v249, v28                           // 00000000AB8C: D2010047 0473F31D
	v_accvgpr_read_b32 v30, a208                               // 00000000AB94: D3D8401E 180001D0
	v_accvgpr_read_b32 v31, a209                               // 00000000AB9C: D3D8401F 180001D1
	v_mul_f32_e32 v30, s47, v30                                // 00000000ABA4: 0A3C3C2F
	v_mul_f32_e32 v31, s47, v31                                // 00000000ABA8: 0A3E3E2F
	v_cmp_u_f32_e64 s[78:79], v30, v30                         // 00000000ABAC: D048004E 00023D1E
	v_bfe_u32 v248, v30, 16, 1                                 // 00000000ABB4: D1C800F8 0205211E
	v_add3_u32 v248, v30, v248, v251                           // 00000000ABBC: D1FF00F8 07EFF11E
	v_cndmask_b32_e64 v28, v248, v250, s[78:79]                // 00000000ABC4: D100001C 013BF5F8
	v_lshrrev_b32_e32 v28, 16, v28                             // 00000000ABCC: 20383890
	v_cmp_u_f32_e64 s[78:79], v31, v31                         // 00000000ABD0: D048004E 00023F1F
	v_bfe_u32 v248, v31, 16, 1                                 // 00000000ABD8: D1C800F8 0205211F
	v_add3_u32 v248, v31, v248, v251                           // 00000000ABE0: D1FF00F8 07EFF11F
	v_cndmask_b32_e64 v29, v248, v250, s[78:79]                // 00000000ABE8: D100001D 013BF5F8
	v_and_or_b32 v72, v29, v249, v28                           // 00000000ABF0: D2010048 0473F31D
	v_accvgpr_read_b32 v30, a210                               // 00000000ABF8: D3D8401E 180001D2
	v_accvgpr_read_b32 v31, a211                               // 00000000AC00: D3D8401F 180001D3
	v_mul_f32_e32 v30, s47, v30                                // 00000000AC08: 0A3C3C2F
	v_mul_f32_e32 v31, s47, v31                                // 00000000AC0C: 0A3E3E2F
	v_cmp_u_f32_e64 s[78:79], v30, v30                         // 00000000AC10: D048004E 00023D1E
	v_bfe_u32 v248, v30, 16, 1                                 // 00000000AC18: D1C800F8 0205211E
	v_add3_u32 v248, v30, v248, v251                           // 00000000AC20: D1FF00F8 07EFF11E
	v_cndmask_b32_e64 v28, v248, v250, s[78:79]                // 00000000AC28: D100001C 013BF5F8
	v_lshrrev_b32_e32 v28, 16, v28                             // 00000000AC30: 20383890
	v_cmp_u_f32_e64 s[78:79], v31, v31                         // 00000000AC34: D048004E 00023F1F
	v_bfe_u32 v248, v31, 16, 1                                 // 00000000AC3C: D1C800F8 0205211F
	v_add3_u32 v248, v31, v248, v251                           // 00000000AC44: D1FF00F8 07EFF11F
	v_cndmask_b32_e64 v29, v248, v250, s[78:79]                // 00000000AC4C: D100001D 013BF5F8
	v_and_or_b32 v73, v29, v249, v28                           // 00000000AC54: D2010049 0473F31D
	v_accvgpr_read_b32 v30, a212                               // 00000000AC5C: D3D8401E 180001D4
	v_accvgpr_read_b32 v31, a213                               // 00000000AC64: D3D8401F 180001D5
	v_mul_f32_e32 v30, s47, v30                                // 00000000AC6C: 0A3C3C2F
	v_mul_f32_e32 v31, s47, v31                                // 00000000AC70: 0A3E3E2F
	v_cmp_u_f32_e64 s[78:79], v30, v30                         // 00000000AC74: D048004E 00023D1E
	v_bfe_u32 v248, v30, 16, 1                                 // 00000000AC7C: D1C800F8 0205211E
	v_add3_u32 v248, v30, v248, v251                           // 00000000AC84: D1FF00F8 07EFF11E
	v_cndmask_b32_e64 v28, v248, v250, s[78:79]                // 00000000AC8C: D100001C 013BF5F8
	v_lshrrev_b32_e32 v28, 16, v28                             // 00000000AC94: 20383890
	v_cmp_u_f32_e64 s[78:79], v31, v31                         // 00000000AC98: D048004E 00023F1F
	v_bfe_u32 v248, v31, 16, 1                                 // 00000000ACA0: D1C800F8 0205211F
	v_add3_u32 v248, v31, v248, v251                           // 00000000ACA8: D1FF00F8 07EFF11F
	v_cndmask_b32_e64 v29, v248, v250, s[78:79]                // 00000000ACB0: D100001D 013BF5F8
	v_and_or_b32 v74, v29, v249, v28                           // 00000000ACB8: D201004A 0473F31D
	v_accvgpr_read_b32 v30, a214                               // 00000000ACC0: D3D8401E 180001D6
	v_accvgpr_read_b32 v31, a215                               // 00000000ACC8: D3D8401F 180001D7
	v_mul_f32_e32 v30, s47, v30                                // 00000000ACD0: 0A3C3C2F
	v_mul_f32_e32 v31, s47, v31                                // 00000000ACD4: 0A3E3E2F
	v_cmp_u_f32_e64 s[78:79], v30, v30                         // 00000000ACD8: D048004E 00023D1E
	v_bfe_u32 v248, v30, 16, 1                                 // 00000000ACE0: D1C800F8 0205211E
	v_add3_u32 v248, v30, v248, v251                           // 00000000ACE8: D1FF00F8 07EFF11E
	v_cndmask_b32_e64 v28, v248, v250, s[78:79]                // 00000000ACF0: D100001C 013BF5F8
	v_lshrrev_b32_e32 v28, 16, v28                             // 00000000ACF8: 20383890
	v_cmp_u_f32_e64 s[78:79], v31, v31                         // 00000000ACFC: D048004E 00023F1F
	v_bfe_u32 v248, v31, 16, 1                                 // 00000000AD04: D1C800F8 0205211F
	v_add3_u32 v248, v31, v248, v251                           // 00000000AD0C: D1FF00F8 07EFF11F
	v_cndmask_b32_e64 v29, v248, v250, s[78:79]                // 00000000AD14: D100001D 013BF5F8
	v_and_or_b32 v75, v29, v249, v28                           // 00000000AD1C: D201004B 0473F31D
	v_accvgpr_read_b32 v30, a216                               // 00000000AD24: D3D8401E 180001D8
	v_accvgpr_read_b32 v31, a217                               // 00000000AD2C: D3D8401F 180001D9
	v_mul_f32_e32 v30, s47, v30                                // 00000000AD34: 0A3C3C2F
	v_mul_f32_e32 v31, s47, v31                                // 00000000AD38: 0A3E3E2F
	v_cmp_u_f32_e64 s[78:79], v30, v30                         // 00000000AD3C: D048004E 00023D1E
	v_bfe_u32 v248, v30, 16, 1                                 // 00000000AD44: D1C800F8 0205211E
	v_add3_u32 v248, v30, v248, v251                           // 00000000AD4C: D1FF00F8 07EFF11E
	v_cndmask_b32_e64 v28, v248, v250, s[78:79]                // 00000000AD54: D100001C 013BF5F8
	v_lshrrev_b32_e32 v28, 16, v28                             // 00000000AD5C: 20383890
	v_cmp_u_f32_e64 s[78:79], v31, v31                         // 00000000AD60: D048004E 00023F1F
	v_bfe_u32 v248, v31, 16, 1                                 // 00000000AD68: D1C800F8 0205211F
	v_add3_u32 v248, v31, v248, v251                           // 00000000AD70: D1FF00F8 07EFF11F
	v_cndmask_b32_e64 v29, v248, v250, s[78:79]                // 00000000AD78: D100001D 013BF5F8
	v_and_or_b32 v76, v29, v249, v28                           // 00000000AD80: D201004C 0473F31D
	v_accvgpr_read_b32 v30, a218                               // 00000000AD88: D3D8401E 180001DA
	v_accvgpr_read_b32 v31, a219                               // 00000000AD90: D3D8401F 180001DB
	v_mul_f32_e32 v30, s47, v30                                // 00000000AD98: 0A3C3C2F
	v_mul_f32_e32 v31, s47, v31                                // 00000000AD9C: 0A3E3E2F
	v_cmp_u_f32_e64 s[78:79], v30, v30                         // 00000000ADA0: D048004E 00023D1E
	v_bfe_u32 v248, v30, 16, 1                                 // 00000000ADA8: D1C800F8 0205211E
	v_add3_u32 v248, v30, v248, v251                           // 00000000ADB0: D1FF00F8 07EFF11E
	v_cndmask_b32_e64 v28, v248, v250, s[78:79]                // 00000000ADB8: D100001C 013BF5F8
	v_lshrrev_b32_e32 v28, 16, v28                             // 00000000ADC0: 20383890
	v_cmp_u_f32_e64 s[78:79], v31, v31                         // 00000000ADC4: D048004E 00023F1F
	v_bfe_u32 v248, v31, 16, 1                                 // 00000000ADCC: D1C800F8 0205211F
	v_add3_u32 v248, v31, v248, v251                           // 00000000ADD4: D1FF00F8 07EFF11F
	v_cndmask_b32_e64 v29, v248, v250, s[78:79]                // 00000000ADDC: D100001D 013BF5F8
	v_and_or_b32 v77, v29, v249, v28                           // 00000000ADE4: D201004D 0473F31D
	v_accvgpr_read_b32 v30, a220                               // 00000000ADEC: D3D8401E 180001DC
	v_accvgpr_read_b32 v31, a221                               // 00000000ADF4: D3D8401F 180001DD
	v_mul_f32_e32 v30, s47, v30                                // 00000000ADFC: 0A3C3C2F
	v_mul_f32_e32 v31, s47, v31                                // 00000000AE00: 0A3E3E2F
	v_cmp_u_f32_e64 s[78:79], v30, v30                         // 00000000AE04: D048004E 00023D1E
	v_bfe_u32 v248, v30, 16, 1                                 // 00000000AE0C: D1C800F8 0205211E
	v_add3_u32 v248, v30, v248, v251                           // 00000000AE14: D1FF00F8 07EFF11E
	v_cndmask_b32_e64 v28, v248, v250, s[78:79]                // 00000000AE1C: D100001C 013BF5F8
	v_lshrrev_b32_e32 v28, 16, v28                             // 00000000AE24: 20383890
	v_cmp_u_f32_e64 s[78:79], v31, v31                         // 00000000AE28: D048004E 00023F1F
	v_bfe_u32 v248, v31, 16, 1                                 // 00000000AE30: D1C800F8 0205211F
	v_add3_u32 v248, v31, v248, v251                           // 00000000AE38: D1FF00F8 07EFF11F
	v_cndmask_b32_e64 v29, v248, v250, s[78:79]                // 00000000AE40: D100001D 013BF5F8
	v_and_or_b32 v78, v29, v249, v28                           // 00000000AE48: D201004E 0473F31D
	v_accvgpr_read_b32 v30, a222                               // 00000000AE50: D3D8401E 180001DE
	v_accvgpr_read_b32 v31, a223                               // 00000000AE58: D3D8401F 180001DF
	v_mul_f32_e32 v30, s47, v30                                // 00000000AE60: 0A3C3C2F
	v_mul_f32_e32 v31, s47, v31                                // 00000000AE64: 0A3E3E2F
	v_cmp_u_f32_e64 s[78:79], v30, v30                         // 00000000AE68: D048004E 00023D1E
	v_bfe_u32 v248, v30, 16, 1                                 // 00000000AE70: D1C800F8 0205211E
	v_add3_u32 v248, v30, v248, v251                           // 00000000AE78: D1FF00F8 07EFF11E
	v_cndmask_b32_e64 v28, v248, v250, s[78:79]                // 00000000AE80: D100001C 013BF5F8
	v_lshrrev_b32_e32 v28, 16, v28                             // 00000000AE88: 20383890
	v_cmp_u_f32_e64 s[78:79], v31, v31                         // 00000000AE8C: D048004E 00023F1F
	v_bfe_u32 v248, v31, 16, 1                                 // 00000000AE94: D1C800F8 0205211F
	v_add3_u32 v248, v31, v248, v251                           // 00000000AE9C: D1FF00F8 07EFF11F
	v_cndmask_b32_e64 v29, v248, v250, s[78:79]                // 00000000AEA4: D100001D 013BF5F8
	v_and_or_b32 v79, v29, v249, v28                           // 00000000AEAC: D201004F 0473F31D
	ds_write_b64 v25, v[64:65] offset:16896                    // 00000000AEB4: D89A4200 00004019
	ds_write_b64 v25, v[66:67] offset:17424                    // 00000000AEBC: D89A4410 00004219
	ds_write_b64 v25, v[68:69] offset:17952                    // 00000000AEC4: D89A4620 00004419
	ds_write_b64 v25, v[70:71] offset:18480                    // 00000000AECC: D89A4830 00004619
	ds_write_b64 v25, v[72:73] offset:19008                    // 00000000AED4: D89A4A40 00004819
	ds_write_b64 v25, v[74:75] offset:19536                    // 00000000AEDC: D89A4C50 00004A19
	ds_write_b64 v25, v[76:77] offset:20064                    // 00000000AEE4: D89A4E60 00004C19
	ds_write_b64 v25, v[78:79] offset:20592                    // 00000000AEEC: D89A5070 00004E19
	s_waitcnt lgkmcnt(0)                                       // 00000000AEF4: BF8CC07F
	s_barrier                                                  // 00000000AEF8: BF8A0000
	ds_read_b64 v[64:65], v24 offset:16896                     // 00000000AEFC: D8EC4200 40000018
	ds_read_b64 v[66:67], v24 offset:17024                     // 00000000AF04: D8EC4280 42000018
	ds_read_b64 v[68:69], v24 offset:16928                     // 00000000AF0C: D8EC4220 44000018
	ds_read_b64 v[70:71], v24 offset:17056                     // 00000000AF14: D8EC42A0 46000018
	ds_read_b64 v[72:73], v24 offset:16960                     // 00000000AF1C: D8EC4240 48000018
	ds_read_b64 v[74:75], v24 offset:17088                     // 00000000AF24: D8EC42C0 4A000018
	ds_read_b64 v[76:77], v24 offset:16992                     // 00000000AF2C: D8EC4260 4C000018
	ds_read_b64 v[78:79], v24 offset:17120                     // 00000000AF34: D8EC42E0 4E000018
	s_waitcnt lgkmcnt(0)                                       // 00000000AF3C: BF8CC07F
	s_mov_b32 s70, s52                                         // 00000000AF40: BEC60034
	s_mov_b64 exec, s[92:93]                                   // 00000000AF44: BEFE015C
	buffer_store_dwordx4 v[64:67], v5, s[36:39], 0 idxen       // 00000000AF48: E07C2000 80094005
	s_mov_b32 exec_lo, -1                                      // 00000000AF50: BEFE00C1
	s_mov_b32 exec_hi, -1                                      // 00000000AF54: BEFF00C1
	v_add_u32_e32 v5, s70, v5                                  // 00000000AF58: 680A0A46
	s_mov_b64 exec, s[92:93]                                   // 00000000AF5C: BEFE015C
	buffer_store_dwordx4 v[68:71], v5, s[36:39], 0 idxen       // 00000000AF60: E07C2000 80094405
	s_mov_b32 exec_lo, -1                                      // 00000000AF68: BEFE00C1
	s_mov_b32 exec_hi, -1                                      // 00000000AF6C: BEFF00C1
	v_add_u32_e32 v5, s70, v5                                  // 00000000AF70: 680A0A46
	s_mov_b64 exec, s[92:93]                                   // 00000000AF74: BEFE015C
	buffer_store_dwordx4 v[72:75], v5, s[36:39], 0 idxen       // 00000000AF78: E07C2000 80094805
	s_mov_b32 exec_lo, -1                                      // 00000000AF80: BEFE00C1
	s_mov_b32 exec_hi, -1                                      // 00000000AF84: BEFF00C1
	v_add_u32_e32 v5, s70, v5                                  // 00000000AF88: 680A0A46
	s_mov_b64 exec, s[92:93]                                   // 00000000AF8C: BEFE015C
	buffer_store_dwordx4 v[76:79], v5, s[36:39], 0 idxen       // 00000000AF90: E07C2000 80094C05
	s_mov_b32 exec_lo, -1                                      // 00000000AF98: BEFE00C1
	s_mov_b32 exec_hi, -1                                      // 00000000AF9C: BEFF00C1
	v_add_u32_e32 v5, s70, v5                                  // 00000000AFA0: 680A0A46
	s_mul_i32 s60, 12, s70                                     // 00000000AFA4: 923C468C
	v_add_u32_e32 v5, s60, v5                                  // 00000000AFA8: 680A0A3C
	s_barrier                                                  // 00000000AFAC: BF8A0000
	s_cmp_ge_i32 2, s72                                        // 00000000AFB0: BF034882
	s_cbranch_scc1 label_1E53                                  // 00000000AFB4: BF8501D1
	v_accvgpr_read_b32 v30, a224                               // 00000000AFB8: D3D8401E 180001E0
	v_accvgpr_read_b32 v31, a225                               // 00000000AFC0: D3D8401F 180001E1
	v_mul_f32_e32 v30, s47, v30                                // 00000000AFC8: 0A3C3C2F
	v_mul_f32_e32 v31, s47, v31                                // 00000000AFCC: 0A3E3E2F
	v_cmp_u_f32_e64 s[78:79], v30, v30                         // 00000000AFD0: D048004E 00023D1E
	v_bfe_u32 v248, v30, 16, 1                                 // 00000000AFD8: D1C800F8 0205211E
	v_add3_u32 v248, v30, v248, v251                           // 00000000AFE0: D1FF00F8 07EFF11E
	v_cndmask_b32_e64 v28, v248, v250, s[78:79]                // 00000000AFE8: D100001C 013BF5F8
	v_lshrrev_b32_e32 v28, 16, v28                             // 00000000AFF0: 20383890
	v_cmp_u_f32_e64 s[78:79], v31, v31                         // 00000000AFF4: D048004E 00023F1F
	v_bfe_u32 v248, v31, 16, 1                                 // 00000000AFFC: D1C800F8 0205211F
	v_add3_u32 v248, v31, v248, v251                           // 00000000B004: D1FF00F8 07EFF11F
	v_cndmask_b32_e64 v29, v248, v250, s[78:79]                // 00000000B00C: D100001D 013BF5F8
	v_and_or_b32 v80, v29, v249, v28                           // 00000000B014: D2010050 0473F31D
	v_accvgpr_read_b32 v30, a226                               // 00000000B01C: D3D8401E 180001E2
	v_accvgpr_read_b32 v31, a227                               // 00000000B024: D3D8401F 180001E3
	v_mul_f32_e32 v30, s47, v30                                // 00000000B02C: 0A3C3C2F
	v_mul_f32_e32 v31, s47, v31                                // 00000000B030: 0A3E3E2F
	v_cmp_u_f32_e64 s[78:79], v30, v30                         // 00000000B034: D048004E 00023D1E
	v_bfe_u32 v248, v30, 16, 1                                 // 00000000B03C: D1C800F8 0205211E
	v_add3_u32 v248, v30, v248, v251                           // 00000000B044: D1FF00F8 07EFF11E
	v_cndmask_b32_e64 v28, v248, v250, s[78:79]                // 00000000B04C: D100001C 013BF5F8
	v_lshrrev_b32_e32 v28, 16, v28                             // 00000000B054: 20383890
	v_cmp_u_f32_e64 s[78:79], v31, v31                         // 00000000B058: D048004E 00023F1F
	v_bfe_u32 v248, v31, 16, 1                                 // 00000000B060: D1C800F8 0205211F
	v_add3_u32 v248, v31, v248, v251                           // 00000000B068: D1FF00F8 07EFF11F
	v_cndmask_b32_e64 v29, v248, v250, s[78:79]                // 00000000B070: D100001D 013BF5F8
	v_and_or_b32 v81, v29, v249, v28                           // 00000000B078: D2010051 0473F31D
	v_accvgpr_read_b32 v30, a228                               // 00000000B080: D3D8401E 180001E4
	v_accvgpr_read_b32 v31, a229                               // 00000000B088: D3D8401F 180001E5
	v_mul_f32_e32 v30, s47, v30                                // 00000000B090: 0A3C3C2F
	v_mul_f32_e32 v31, s47, v31                                // 00000000B094: 0A3E3E2F
	v_cmp_u_f32_e64 s[78:79], v30, v30                         // 00000000B098: D048004E 00023D1E
	v_bfe_u32 v248, v30, 16, 1                                 // 00000000B0A0: D1C800F8 0205211E
	v_add3_u32 v248, v30, v248, v251                           // 00000000B0A8: D1FF00F8 07EFF11E
	v_cndmask_b32_e64 v28, v248, v250, s[78:79]                // 00000000B0B0: D100001C 013BF5F8
	v_lshrrev_b32_e32 v28, 16, v28                             // 00000000B0B8: 20383890
	v_cmp_u_f32_e64 s[78:79], v31, v31                         // 00000000B0BC: D048004E 00023F1F
	v_bfe_u32 v248, v31, 16, 1                                 // 00000000B0C4: D1C800F8 0205211F
	v_add3_u32 v248, v31, v248, v251                           // 00000000B0CC: D1FF00F8 07EFF11F
	v_cndmask_b32_e64 v29, v248, v250, s[78:79]                // 00000000B0D4: D100001D 013BF5F8
	v_and_or_b32 v82, v29, v249, v28                           // 00000000B0DC: D2010052 0473F31D
	v_accvgpr_read_b32 v30, a230                               // 00000000B0E4: D3D8401E 180001E6
	v_accvgpr_read_b32 v31, a231                               // 00000000B0EC: D3D8401F 180001E7
	v_mul_f32_e32 v30, s47, v30                                // 00000000B0F4: 0A3C3C2F
	v_mul_f32_e32 v31, s47, v31                                // 00000000B0F8: 0A3E3E2F
	v_cmp_u_f32_e64 s[78:79], v30, v30                         // 00000000B0FC: D048004E 00023D1E
	v_bfe_u32 v248, v30, 16, 1                                 // 00000000B104: D1C800F8 0205211E
	v_add3_u32 v248, v30, v248, v251                           // 00000000B10C: D1FF00F8 07EFF11E
	v_cndmask_b32_e64 v28, v248, v250, s[78:79]                // 00000000B114: D100001C 013BF5F8
	v_lshrrev_b32_e32 v28, 16, v28                             // 00000000B11C: 20383890
	v_cmp_u_f32_e64 s[78:79], v31, v31                         // 00000000B120: D048004E 00023F1F
	v_bfe_u32 v248, v31, 16, 1                                 // 00000000B128: D1C800F8 0205211F
	v_add3_u32 v248, v31, v248, v251                           // 00000000B130: D1FF00F8 07EFF11F
	v_cndmask_b32_e64 v29, v248, v250, s[78:79]                // 00000000B138: D100001D 013BF5F8
	v_and_or_b32 v83, v29, v249, v28                           // 00000000B140: D2010053 0473F31D
	v_accvgpr_read_b32 v30, a232                               // 00000000B148: D3D8401E 180001E8
	v_accvgpr_read_b32 v31, a233                               // 00000000B150: D3D8401F 180001E9
	v_mul_f32_e32 v30, s47, v30                                // 00000000B158: 0A3C3C2F
	v_mul_f32_e32 v31, s47, v31                                // 00000000B15C: 0A3E3E2F
	v_cmp_u_f32_e64 s[78:79], v30, v30                         // 00000000B160: D048004E 00023D1E
	v_bfe_u32 v248, v30, 16, 1                                 // 00000000B168: D1C800F8 0205211E
	v_add3_u32 v248, v30, v248, v251                           // 00000000B170: D1FF00F8 07EFF11E
	v_cndmask_b32_e64 v28, v248, v250, s[78:79]                // 00000000B178: D100001C 013BF5F8
	v_lshrrev_b32_e32 v28, 16, v28                             // 00000000B180: 20383890
	v_cmp_u_f32_e64 s[78:79], v31, v31                         // 00000000B184: D048004E 00023F1F
	v_bfe_u32 v248, v31, 16, 1                                 // 00000000B18C: D1C800F8 0205211F
	v_add3_u32 v248, v31, v248, v251                           // 00000000B194: D1FF00F8 07EFF11F
	v_cndmask_b32_e64 v29, v248, v250, s[78:79]                // 00000000B19C: D100001D 013BF5F8
	v_and_or_b32 v84, v29, v249, v28                           // 00000000B1A4: D2010054 0473F31D
	v_accvgpr_read_b32 v30, a234                               // 00000000B1AC: D3D8401E 180001EA
	v_accvgpr_read_b32 v31, a235                               // 00000000B1B4: D3D8401F 180001EB
	v_mul_f32_e32 v30, s47, v30                                // 00000000B1BC: 0A3C3C2F
	v_mul_f32_e32 v31, s47, v31                                // 00000000B1C0: 0A3E3E2F
	v_cmp_u_f32_e64 s[78:79], v30, v30                         // 00000000B1C4: D048004E 00023D1E
	v_bfe_u32 v248, v30, 16, 1                                 // 00000000B1CC: D1C800F8 0205211E
	v_add3_u32 v248, v30, v248, v251                           // 00000000B1D4: D1FF00F8 07EFF11E
	v_cndmask_b32_e64 v28, v248, v250, s[78:79]                // 00000000B1DC: D100001C 013BF5F8
	v_lshrrev_b32_e32 v28, 16, v28                             // 00000000B1E4: 20383890
	v_cmp_u_f32_e64 s[78:79], v31, v31                         // 00000000B1E8: D048004E 00023F1F
	v_bfe_u32 v248, v31, 16, 1                                 // 00000000B1F0: D1C800F8 0205211F
	v_add3_u32 v248, v31, v248, v251                           // 00000000B1F8: D1FF00F8 07EFF11F
	v_cndmask_b32_e64 v29, v248, v250, s[78:79]                // 00000000B200: D100001D 013BF5F8
	v_and_or_b32 v85, v29, v249, v28                           // 00000000B208: D2010055 0473F31D
	v_accvgpr_read_b32 v30, a236                               // 00000000B210: D3D8401E 180001EC
	v_accvgpr_read_b32 v31, a237                               // 00000000B218: D3D8401F 180001ED
	v_mul_f32_e32 v30, s47, v30                                // 00000000B220: 0A3C3C2F
	v_mul_f32_e32 v31, s47, v31                                // 00000000B224: 0A3E3E2F
	v_cmp_u_f32_e64 s[78:79], v30, v30                         // 00000000B228: D048004E 00023D1E
	v_bfe_u32 v248, v30, 16, 1                                 // 00000000B230: D1C800F8 0205211E
	v_add3_u32 v248, v30, v248, v251                           // 00000000B238: D1FF00F8 07EFF11E
	v_cndmask_b32_e64 v28, v248, v250, s[78:79]                // 00000000B240: D100001C 013BF5F8
	v_lshrrev_b32_e32 v28, 16, v28                             // 00000000B248: 20383890
	v_cmp_u_f32_e64 s[78:79], v31, v31                         // 00000000B24C: D048004E 00023F1F
	v_bfe_u32 v248, v31, 16, 1                                 // 00000000B254: D1C800F8 0205211F
	v_add3_u32 v248, v31, v248, v251                           // 00000000B25C: D1FF00F8 07EFF11F
	v_cndmask_b32_e64 v29, v248, v250, s[78:79]                // 00000000B264: D100001D 013BF5F8
	v_and_or_b32 v86, v29, v249, v28                           // 00000000B26C: D2010056 0473F31D
	v_accvgpr_read_b32 v30, a238                               // 00000000B274: D3D8401E 180001EE
	v_accvgpr_read_b32 v31, a239                               // 00000000B27C: D3D8401F 180001EF
	v_mul_f32_e32 v30, s47, v30                                // 00000000B284: 0A3C3C2F
	v_mul_f32_e32 v31, s47, v31                                // 00000000B288: 0A3E3E2F
	v_cmp_u_f32_e64 s[78:79], v30, v30                         // 00000000B28C: D048004E 00023D1E
	v_bfe_u32 v248, v30, 16, 1                                 // 00000000B294: D1C800F8 0205211E
	v_add3_u32 v248, v30, v248, v251                           // 00000000B29C: D1FF00F8 07EFF11E
	v_cndmask_b32_e64 v28, v248, v250, s[78:79]                // 00000000B2A4: D100001C 013BF5F8
	v_lshrrev_b32_e32 v28, 16, v28                             // 00000000B2AC: 20383890
	v_cmp_u_f32_e64 s[78:79], v31, v31                         // 00000000B2B0: D048004E 00023F1F
	v_bfe_u32 v248, v31, 16, 1                                 // 00000000B2B8: D1C800F8 0205211F
	v_add3_u32 v248, v31, v248, v251                           // 00000000B2C0: D1FF00F8 07EFF11F
	v_cndmask_b32_e64 v29, v248, v250, s[78:79]                // 00000000B2C8: D100001D 013BF5F8
	v_and_or_b32 v87, v29, v249, v28                           // 00000000B2D0: D2010057 0473F31D
	v_accvgpr_read_b32 v30, a240                               // 00000000B2D8: D3D8401E 180001F0
	v_accvgpr_read_b32 v31, a241                               // 00000000B2E0: D3D8401F 180001F1
	v_mul_f32_e32 v30, s47, v30                                // 00000000B2E8: 0A3C3C2F
	v_mul_f32_e32 v31, s47, v31                                // 00000000B2EC: 0A3E3E2F
	v_cmp_u_f32_e64 s[78:79], v30, v30                         // 00000000B2F0: D048004E 00023D1E
	v_bfe_u32 v248, v30, 16, 1                                 // 00000000B2F8: D1C800F8 0205211E
	v_add3_u32 v248, v30, v248, v251                           // 00000000B300: D1FF00F8 07EFF11E
	v_cndmask_b32_e64 v28, v248, v250, s[78:79]                // 00000000B308: D100001C 013BF5F8
	v_lshrrev_b32_e32 v28, 16, v28                             // 00000000B310: 20383890
	v_cmp_u_f32_e64 s[78:79], v31, v31                         // 00000000B314: D048004E 00023F1F
	v_bfe_u32 v248, v31, 16, 1                                 // 00000000B31C: D1C800F8 0205211F
	v_add3_u32 v248, v31, v248, v251                           // 00000000B324: D1FF00F8 07EFF11F
	v_cndmask_b32_e64 v29, v248, v250, s[78:79]                // 00000000B32C: D100001D 013BF5F8
	v_and_or_b32 v88, v29, v249, v28                           // 00000000B334: D2010058 0473F31D
	v_accvgpr_read_b32 v30, a242                               // 00000000B33C: D3D8401E 180001F2
	v_accvgpr_read_b32 v31, a243                               // 00000000B344: D3D8401F 180001F3
	v_mul_f32_e32 v30, s47, v30                                // 00000000B34C: 0A3C3C2F
	v_mul_f32_e32 v31, s47, v31                                // 00000000B350: 0A3E3E2F
	v_cmp_u_f32_e64 s[78:79], v30, v30                         // 00000000B354: D048004E 00023D1E
	v_bfe_u32 v248, v30, 16, 1                                 // 00000000B35C: D1C800F8 0205211E
	v_add3_u32 v248, v30, v248, v251                           // 00000000B364: D1FF00F8 07EFF11E
	v_cndmask_b32_e64 v28, v248, v250, s[78:79]                // 00000000B36C: D100001C 013BF5F8
	v_lshrrev_b32_e32 v28, 16, v28                             // 00000000B374: 20383890
	v_cmp_u_f32_e64 s[78:79], v31, v31                         // 00000000B378: D048004E 00023F1F
	v_bfe_u32 v248, v31, 16, 1                                 // 00000000B380: D1C800F8 0205211F
	v_add3_u32 v248, v31, v248, v251                           // 00000000B388: D1FF00F8 07EFF11F
	v_cndmask_b32_e64 v29, v248, v250, s[78:79]                // 00000000B390: D100001D 013BF5F8
	v_and_or_b32 v89, v29, v249, v28                           // 00000000B398: D2010059 0473F31D
	v_accvgpr_read_b32 v30, a244                               // 00000000B3A0: D3D8401E 180001F4
	v_accvgpr_read_b32 v31, a245                               // 00000000B3A8: D3D8401F 180001F5
	v_mul_f32_e32 v30, s47, v30                                // 00000000B3B0: 0A3C3C2F
	v_mul_f32_e32 v31, s47, v31                                // 00000000B3B4: 0A3E3E2F
	v_cmp_u_f32_e64 s[78:79], v30, v30                         // 00000000B3B8: D048004E 00023D1E
	v_bfe_u32 v248, v30, 16, 1                                 // 00000000B3C0: D1C800F8 0205211E
	v_add3_u32 v248, v30, v248, v251                           // 00000000B3C8: D1FF00F8 07EFF11E
	v_cndmask_b32_e64 v28, v248, v250, s[78:79]                // 00000000B3D0: D100001C 013BF5F8
	v_lshrrev_b32_e32 v28, 16, v28                             // 00000000B3D8: 20383890
	v_cmp_u_f32_e64 s[78:79], v31, v31                         // 00000000B3DC: D048004E 00023F1F
	v_bfe_u32 v248, v31, 16, 1                                 // 00000000B3E4: D1C800F8 0205211F
	v_add3_u32 v248, v31, v248, v251                           // 00000000B3EC: D1FF00F8 07EFF11F
	v_cndmask_b32_e64 v29, v248, v250, s[78:79]                // 00000000B3F4: D100001D 013BF5F8
	v_and_or_b32 v90, v29, v249, v28                           // 00000000B3FC: D201005A 0473F31D
	v_accvgpr_read_b32 v30, a246                               // 00000000B404: D3D8401E 180001F6
	v_accvgpr_read_b32 v31, a247                               // 00000000B40C: D3D8401F 180001F7
	v_mul_f32_e32 v30, s47, v30                                // 00000000B414: 0A3C3C2F
	v_mul_f32_e32 v31, s47, v31                                // 00000000B418: 0A3E3E2F
	v_cmp_u_f32_e64 s[78:79], v30, v30                         // 00000000B41C: D048004E 00023D1E
	v_bfe_u32 v248, v30, 16, 1                                 // 00000000B424: D1C800F8 0205211E
	v_add3_u32 v248, v30, v248, v251                           // 00000000B42C: D1FF00F8 07EFF11E
	v_cndmask_b32_e64 v28, v248, v250, s[78:79]                // 00000000B434: D100001C 013BF5F8
	v_lshrrev_b32_e32 v28, 16, v28                             // 00000000B43C: 20383890
	v_cmp_u_f32_e64 s[78:79], v31, v31                         // 00000000B440: D048004E 00023F1F
	v_bfe_u32 v248, v31, 16, 1                                 // 00000000B448: D1C800F8 0205211F
	v_add3_u32 v248, v31, v248, v251                           // 00000000B450: D1FF00F8 07EFF11F
	v_cndmask_b32_e64 v29, v248, v250, s[78:79]                // 00000000B458: D100001D 013BF5F8
	v_and_or_b32 v91, v29, v249, v28                           // 00000000B460: D201005B 0473F31D
	v_accvgpr_read_b32 v30, a248                               // 00000000B468: D3D8401E 180001F8
	v_accvgpr_read_b32 v31, a249                               // 00000000B470: D3D8401F 180001F9
	v_mul_f32_e32 v30, s47, v30                                // 00000000B478: 0A3C3C2F
	v_mul_f32_e32 v31, s47, v31                                // 00000000B47C: 0A3E3E2F
	v_cmp_u_f32_e64 s[78:79], v30, v30                         // 00000000B480: D048004E 00023D1E
	v_bfe_u32 v248, v30, 16, 1                                 // 00000000B488: D1C800F8 0205211E
	v_add3_u32 v248, v30, v248, v251                           // 00000000B490: D1FF00F8 07EFF11E
	v_cndmask_b32_e64 v28, v248, v250, s[78:79]                // 00000000B498: D100001C 013BF5F8
	v_lshrrev_b32_e32 v28, 16, v28                             // 00000000B4A0: 20383890
	v_cmp_u_f32_e64 s[78:79], v31, v31                         // 00000000B4A4: D048004E 00023F1F
	v_bfe_u32 v248, v31, 16, 1                                 // 00000000B4AC: D1C800F8 0205211F
	v_add3_u32 v248, v31, v248, v251                           // 00000000B4B4: D1FF00F8 07EFF11F
	v_cndmask_b32_e64 v29, v248, v250, s[78:79]                // 00000000B4BC: D100001D 013BF5F8
	v_and_or_b32 v92, v29, v249, v28                           // 00000000B4C4: D201005C 0473F31D
	v_accvgpr_read_b32 v30, a250                               // 00000000B4CC: D3D8401E 180001FA
	v_accvgpr_read_b32 v31, a251                               // 00000000B4D4: D3D8401F 180001FB
	v_mul_f32_e32 v30, s47, v30                                // 00000000B4DC: 0A3C3C2F
	v_mul_f32_e32 v31, s47, v31                                // 00000000B4E0: 0A3E3E2F
	v_cmp_u_f32_e64 s[78:79], v30, v30                         // 00000000B4E4: D048004E 00023D1E
	v_bfe_u32 v248, v30, 16, 1                                 // 00000000B4EC: D1C800F8 0205211E
	v_add3_u32 v248, v30, v248, v251                           // 00000000B4F4: D1FF00F8 07EFF11E
	v_cndmask_b32_e64 v28, v248, v250, s[78:79]                // 00000000B4FC: D100001C 013BF5F8
	v_lshrrev_b32_e32 v28, 16, v28                             // 00000000B504: 20383890
	v_cmp_u_f32_e64 s[78:79], v31, v31                         // 00000000B508: D048004E 00023F1F
	v_bfe_u32 v248, v31, 16, 1                                 // 00000000B510: D1C800F8 0205211F
	v_add3_u32 v248, v31, v248, v251                           // 00000000B518: D1FF00F8 07EFF11F
	v_cndmask_b32_e64 v29, v248, v250, s[78:79]                // 00000000B520: D100001D 013BF5F8
	v_and_or_b32 v93, v29, v249, v28                           // 00000000B528: D201005D 0473F31D
	v_accvgpr_read_b32 v30, a252                               // 00000000B530: D3D8401E 180001FC
	v_accvgpr_read_b32 v31, a253                               // 00000000B538: D3D8401F 180001FD
	v_mul_f32_e32 v30, s47, v30                                // 00000000B540: 0A3C3C2F
	v_mul_f32_e32 v31, s47, v31                                // 00000000B544: 0A3E3E2F
	v_cmp_u_f32_e64 s[78:79], v30, v30                         // 00000000B548: D048004E 00023D1E
	v_bfe_u32 v248, v30, 16, 1                                 // 00000000B550: D1C800F8 0205211E
	v_add3_u32 v248, v30, v248, v251                           // 00000000B558: D1FF00F8 07EFF11E
	v_cndmask_b32_e64 v28, v248, v250, s[78:79]                // 00000000B560: D100001C 013BF5F8
	v_lshrrev_b32_e32 v28, 16, v28                             // 00000000B568: 20383890
	v_cmp_u_f32_e64 s[78:79], v31, v31                         // 00000000B56C: D048004E 00023F1F
	v_bfe_u32 v248, v31, 16, 1                                 // 00000000B574: D1C800F8 0205211F
	v_add3_u32 v248, v31, v248, v251                           // 00000000B57C: D1FF00F8 07EFF11F
	v_cndmask_b32_e64 v29, v248, v250, s[78:79]                // 00000000B584: D100001D 013BF5F8
	v_and_or_b32 v94, v29, v249, v28                           // 00000000B58C: D201005E 0473F31D
	v_accvgpr_read_b32 v30, a254                               // 00000000B594: D3D8401E 180001FE
	v_accvgpr_read_b32 v31, a255                               // 00000000B59C: D3D8401F 180001FF
	v_mul_f32_e32 v30, s47, v30                                // 00000000B5A4: 0A3C3C2F
	v_mul_f32_e32 v31, s47, v31                                // 00000000B5A8: 0A3E3E2F
	v_cmp_u_f32_e64 s[78:79], v30, v30                         // 00000000B5AC: D048004E 00023D1E
	v_bfe_u32 v248, v30, 16, 1                                 // 00000000B5B4: D1C800F8 0205211E
	v_add3_u32 v248, v30, v248, v251                           // 00000000B5BC: D1FF00F8 07EFF11E
	v_cndmask_b32_e64 v28, v248, v250, s[78:79]                // 00000000B5C4: D100001C 013BF5F8
	v_lshrrev_b32_e32 v28, 16, v28                             // 00000000B5CC: 20383890
	v_cmp_u_f32_e64 s[78:79], v31, v31                         // 00000000B5D0: D048004E 00023F1F
	v_bfe_u32 v248, v31, 16, 1                                 // 00000000B5D8: D1C800F8 0205211F
	v_add3_u32 v248, v31, v248, v251                           // 00000000B5E0: D1FF00F8 07EFF11F
	v_cndmask_b32_e64 v29, v248, v250, s[78:79]                // 00000000B5E8: D100001D 013BF5F8
	v_and_or_b32 v95, v29, v249, v28                           // 00000000B5F0: D201005F 0473F31D
	ds_write_b64 v25, v[80:81] offset:33792                    // 00000000B5F8: D89A8400 00005019
	ds_write_b64 v25, v[82:83] offset:34320                    // 00000000B600: D89A8610 00005219
	ds_write_b64 v25, v[84:85] offset:34848                    // 00000000B608: D89A8820 00005419
	ds_write_b64 v25, v[86:87] offset:35376                    // 00000000B610: D89A8A30 00005619
	ds_write_b64 v25, v[88:89] offset:35904                    // 00000000B618: D89A8C40 00005819
	ds_write_b64 v25, v[90:91] offset:36432                    // 00000000B620: D89A8E50 00005A19
	ds_write_b64 v25, v[92:93] offset:36960                    // 00000000B628: D89A9060 00005C19
	ds_write_b64 v25, v[94:95] offset:37488                    // 00000000B630: D89A9270 00005E19
	s_waitcnt lgkmcnt(0)                                       // 00000000B638: BF8CC07F
	s_barrier                                                  // 00000000B63C: BF8A0000
	ds_read_b64 v[80:81], v24 offset:33792                     // 00000000B640: D8EC8400 50000018
	ds_read_b64 v[82:83], v24 offset:33920                     // 00000000B648: D8EC8480 52000018
	ds_read_b64 v[84:85], v24 offset:33824                     // 00000000B650: D8EC8420 54000018
	ds_read_b64 v[86:87], v24 offset:33952                     // 00000000B658: D8EC84A0 56000018
	ds_read_b64 v[88:89], v24 offset:33856                     // 00000000B660: D8EC8440 58000018
	ds_read_b64 v[90:91], v24 offset:33984                     // 00000000B668: D8EC84C0 5A000018
	ds_read_b64 v[92:93], v24 offset:33888                     // 00000000B670: D8EC8460 5C000018
	ds_read_b64 v[94:95], v24 offset:34016                     // 00000000B678: D8EC84E0 5E000018
	s_waitcnt lgkmcnt(0)                                       // 00000000B680: BF8CC07F
	s_mov_b32 s70, s52                                         // 00000000B684: BEC60034
	s_mov_b64 exec, s[92:93]                                   // 00000000B688: BEFE015C
	buffer_store_dwordx4 v[80:83], v5, s[36:39], 0 idxen       // 00000000B68C: E07C2000 80095005
	s_mov_b32 exec_lo, -1                                      // 00000000B694: BEFE00C1
	s_mov_b32 exec_hi, -1                                      // 00000000B698: BEFF00C1
	v_add_u32_e32 v5, s70, v5                                  // 00000000B69C: 680A0A46
	s_mov_b64 exec, s[92:93]                                   // 00000000B6A0: BEFE015C
	buffer_store_dwordx4 v[84:87], v5, s[36:39], 0 idxen       // 00000000B6A4: E07C2000 80095405
	s_mov_b32 exec_lo, -1                                      // 00000000B6AC: BEFE00C1
	s_mov_b32 exec_hi, -1                                      // 00000000B6B0: BEFF00C1
	v_add_u32_e32 v5, s70, v5                                  // 00000000B6B4: 680A0A46
	s_mov_b64 exec, s[92:93]                                   // 00000000B6B8: BEFE015C
	buffer_store_dwordx4 v[88:91], v5, s[36:39], 0 idxen       // 00000000B6BC: E07C2000 80095805
	s_mov_b32 exec_lo, -1                                      // 00000000B6C4: BEFE00C1
	s_mov_b32 exec_hi, -1                                      // 00000000B6C8: BEFF00C1
	v_add_u32_e32 v5, s70, v5                                  // 00000000B6CC: 680A0A46
	s_mov_b64 exec, s[92:93]                                   // 00000000B6D0: BEFE015C
	buffer_store_dwordx4 v[92:95], v5, s[36:39], 0 idxen       // 00000000B6D4: E07C2000 80095C05
	s_mov_b32 exec_lo, -1                                      // 00000000B6DC: BEFE00C1
	s_mov_b32 exec_hi, -1                                      // 00000000B6E0: BEFF00C1
	v_add_u32_e32 v5, s70, v5                                  // 00000000B6E4: 680A0A46
	s_mul_i32 s60, 12, s70                                     // 00000000B6E8: 923C468C
	v_add_u32_e32 v5, s60, v5                                  // 00000000B6EC: 680A0A3C
	s_barrier                                                  // 00000000B6F0: BF8A0000
	s_cmp_ge_i32 3, s72                                        // 00000000B6F4: BF034883
	s_cbranch_scc1 label_1E53                                  // 00000000B6F8: BF850000

000000000000b6fc <label_1E53>:
	v_mov_b32_e32 v30, v152                                    // 00000000B6FC: 7E3C0398
	v_mov_b32_e32 v31, v153                                    // 00000000B700: 7E3E0399
	v_cmp_u_f32_e64 s[78:79], v30, v30                         // 00000000B704: D048004E 00023D1E
	v_bfe_u32 v248, v30, 16, 1                                 // 00000000B70C: D1C800F8 0205211E
	v_add3_u32 v248, v30, v248, v251                           // 00000000B714: D1FF00F8 07EFF11E
	v_cndmask_b32_e64 v28, v248, v250, s[78:79]                // 00000000B71C: D100001C 013BF5F8
	v_lshrrev_b32_e32 v28, 16, v28                             // 00000000B724: 20383890
	v_cmp_u_f32_e64 s[78:79], v31, v31                         // 00000000B728: D048004E 00023F1F
	v_bfe_u32 v248, v31, 16, 1                                 // 00000000B730: D1C800F8 0205211F
	v_add3_u32 v248, v31, v248, v251                           // 00000000B738: D1FF00F8 07EFF11F
	v_cndmask_b32_e64 v29, v248, v250, s[78:79]                // 00000000B740: D100001D 013BF5F8
	v_and_or_b32 v152, v29, v249, v28                          // 00000000B748: D2010098 0473F31D
	v_mov_b32_e32 v30, v154                                    // 00000000B750: 7E3C039A
	v_mov_b32_e32 v31, v155                                    // 00000000B754: 7E3E039B
	v_cmp_u_f32_e64 s[78:79], v30, v30                         // 00000000B758: D048004E 00023D1E
	v_bfe_u32 v248, v30, 16, 1                                 // 00000000B760: D1C800F8 0205211E
	v_add3_u32 v248, v30, v248, v251                           // 00000000B768: D1FF00F8 07EFF11E
	v_cndmask_b32_e64 v28, v248, v250, s[78:79]                // 00000000B770: D100001C 013BF5F8
	v_lshrrev_b32_e32 v28, 16, v28                             // 00000000B778: 20383890
	v_cmp_u_f32_e64 s[78:79], v31, v31                         // 00000000B77C: D048004E 00023F1F
	v_bfe_u32 v248, v31, 16, 1                                 // 00000000B784: D1C800F8 0205211F
	v_add3_u32 v248, v31, v248, v251                           // 00000000B78C: D1FF00F8 07EFF11F
	v_cndmask_b32_e64 v29, v248, v250, s[78:79]                // 00000000B794: D100001D 013BF5F8
	v_and_or_b32 v153, v29, v249, v28                          // 00000000B79C: D2010099 0473F31D
	v_mov_b32_e32 v30, v156                                    // 00000000B7A4: 7E3C039C
	v_mov_b32_e32 v31, v157                                    // 00000000B7A8: 7E3E039D
	v_cmp_u_f32_e64 s[78:79], v30, v30                         // 00000000B7AC: D048004E 00023D1E
	v_bfe_u32 v248, v30, 16, 1                                 // 00000000B7B4: D1C800F8 0205211E
	v_add3_u32 v248, v30, v248, v251                           // 00000000B7BC: D1FF00F8 07EFF11E
	v_cndmask_b32_e64 v28, v248, v250, s[78:79]                // 00000000B7C4: D100001C 013BF5F8
	v_lshrrev_b32_e32 v28, 16, v28                             // 00000000B7CC: 20383890
	v_cmp_u_f32_e64 s[78:79], v31, v31                         // 00000000B7D0: D048004E 00023F1F
	v_bfe_u32 v248, v31, 16, 1                                 // 00000000B7D8: D1C800F8 0205211F
	v_add3_u32 v248, v31, v248, v251                           // 00000000B7E0: D1FF00F8 07EFF11F
	v_cndmask_b32_e64 v29, v248, v250, s[78:79]                // 00000000B7E8: D100001D 013BF5F8
	v_and_or_b32 v154, v29, v249, v28                          // 00000000B7F0: D201009A 0473F31D
	v_mov_b32_e32 v30, v158                                    // 00000000B7F8: 7E3C039E
	v_mov_b32_e32 v31, v159                                    // 00000000B7FC: 7E3E039F
	v_cmp_u_f32_e64 s[78:79], v30, v30                         // 00000000B800: D048004E 00023D1E
	v_bfe_u32 v248, v30, 16, 1                                 // 00000000B808: D1C800F8 0205211E
	v_add3_u32 v248, v30, v248, v251                           // 00000000B810: D1FF00F8 07EFF11E
	v_cndmask_b32_e64 v28, v248, v250, s[78:79]                // 00000000B818: D100001C 013BF5F8
	v_lshrrev_b32_e32 v28, 16, v28                             // 00000000B820: 20383890
	v_cmp_u_f32_e64 s[78:79], v31, v31                         // 00000000B824: D048004E 00023F1F
	v_bfe_u32 v248, v31, 16, 1                                 // 00000000B82C: D1C800F8 0205211F
	v_add3_u32 v248, v31, v248, v251                           // 00000000B834: D1FF00F8 07EFF11F
	v_cndmask_b32_e64 v29, v248, v250, s[78:79]                // 00000000B83C: D100001D 013BF5F8
	v_and_or_b32 v155, v29, v249, v28                          // 00000000B844: D201009B 0473F31D
	v_mov_b32_e32 v30, v160                                    // 00000000B84C: 7E3C03A0
	v_mov_b32_e32 v31, v161                                    // 00000000B850: 7E3E03A1
	v_cmp_u_f32_e64 s[78:79], v30, v30                         // 00000000B854: D048004E 00023D1E
	v_bfe_u32 v248, v30, 16, 1                                 // 00000000B85C: D1C800F8 0205211E
	v_add3_u32 v248, v30, v248, v251                           // 00000000B864: D1FF00F8 07EFF11E
	v_cndmask_b32_e64 v28, v248, v250, s[78:79]                // 00000000B86C: D100001C 013BF5F8
	v_lshrrev_b32_e32 v28, 16, v28                             // 00000000B874: 20383890
	v_cmp_u_f32_e64 s[78:79], v31, v31                         // 00000000B878: D048004E 00023F1F
	v_bfe_u32 v248, v31, 16, 1                                 // 00000000B880: D1C800F8 0205211F
	v_add3_u32 v248, v31, v248, v251                           // 00000000B888: D1FF00F8 07EFF11F
	v_cndmask_b32_e64 v29, v248, v250, s[78:79]                // 00000000B890: D100001D 013BF5F8
	v_and_or_b32 v156, v29, v249, v28                          // 00000000B898: D201009C 0473F31D
	v_mov_b32_e32 v30, v162                                    // 00000000B8A0: 7E3C03A2
	v_mov_b32_e32 v31, v163                                    // 00000000B8A4: 7E3E03A3
	v_cmp_u_f32_e64 s[78:79], v30, v30                         // 00000000B8A8: D048004E 00023D1E
	v_bfe_u32 v248, v30, 16, 1                                 // 00000000B8B0: D1C800F8 0205211E
	v_add3_u32 v248, v30, v248, v251                           // 00000000B8B8: D1FF00F8 07EFF11E
	v_cndmask_b32_e64 v28, v248, v250, s[78:79]                // 00000000B8C0: D100001C 013BF5F8
	v_lshrrev_b32_e32 v28, 16, v28                             // 00000000B8C8: 20383890
	v_cmp_u_f32_e64 s[78:79], v31, v31                         // 00000000B8CC: D048004E 00023F1F
	v_bfe_u32 v248, v31, 16, 1                                 // 00000000B8D4: D1C800F8 0205211F
	v_add3_u32 v248, v31, v248, v251                           // 00000000B8DC: D1FF00F8 07EFF11F
	v_cndmask_b32_e64 v29, v248, v250, s[78:79]                // 00000000B8E4: D100001D 013BF5F8
	v_and_or_b32 v157, v29, v249, v28                          // 00000000B8EC: D201009D 0473F31D
	v_mov_b32_e32 v30, v164                                    // 00000000B8F4: 7E3C03A4
	v_mov_b32_e32 v31, v165                                    // 00000000B8F8: 7E3E03A5
	v_cmp_u_f32_e64 s[78:79], v30, v30                         // 00000000B8FC: D048004E 00023D1E
	v_bfe_u32 v248, v30, 16, 1                                 // 00000000B904: D1C800F8 0205211E
	v_add3_u32 v248, v30, v248, v251                           // 00000000B90C: D1FF00F8 07EFF11E
	v_cndmask_b32_e64 v28, v248, v250, s[78:79]                // 00000000B914: D100001C 013BF5F8
	v_lshrrev_b32_e32 v28, 16, v28                             // 00000000B91C: 20383890
	v_cmp_u_f32_e64 s[78:79], v31, v31                         // 00000000B920: D048004E 00023F1F
	v_bfe_u32 v248, v31, 16, 1                                 // 00000000B928: D1C800F8 0205211F
	v_add3_u32 v248, v31, v248, v251                           // 00000000B930: D1FF00F8 07EFF11F
	v_cndmask_b32_e64 v29, v248, v250, s[78:79]                // 00000000B938: D100001D 013BF5F8
	v_and_or_b32 v158, v29, v249, v28                          // 00000000B940: D201009E 0473F31D
	v_mov_b32_e32 v30, v166                                    // 00000000B948: 7E3C03A6
	v_mov_b32_e32 v31, v167                                    // 00000000B94C: 7E3E03A7
	v_cmp_u_f32_e64 s[78:79], v30, v30                         // 00000000B950: D048004E 00023D1E
	v_bfe_u32 v248, v30, 16, 1                                 // 00000000B958: D1C800F8 0205211E
	v_add3_u32 v248, v30, v248, v251                           // 00000000B960: D1FF00F8 07EFF11E
	v_cndmask_b32_e64 v28, v248, v250, s[78:79]                // 00000000B968: D100001C 013BF5F8
	v_lshrrev_b32_e32 v28, 16, v28                             // 00000000B970: 20383890
	v_cmp_u_f32_e64 s[78:79], v31, v31                         // 00000000B974: D048004E 00023F1F
	v_bfe_u32 v248, v31, 16, 1                                 // 00000000B97C: D1C800F8 0205211F
	v_add3_u32 v248, v31, v248, v251                           // 00000000B984: D1FF00F8 07EFF11F
	v_cndmask_b32_e64 v29, v248, v250, s[78:79]                // 00000000B98C: D100001D 013BF5F8
	v_and_or_b32 v159, v29, v249, v28                          // 00000000B994: D201009F 0473F31D
	v_mov_b32_e32 v30, v168                                    // 00000000B99C: 7E3C03A8
	v_mov_b32_e32 v31, v169                                    // 00000000B9A0: 7E3E03A9
	v_cmp_u_f32_e64 s[78:79], v30, v30                         // 00000000B9A4: D048004E 00023D1E
	v_bfe_u32 v248, v30, 16, 1                                 // 00000000B9AC: D1C800F8 0205211E
	v_add3_u32 v248, v30, v248, v251                           // 00000000B9B4: D1FF00F8 07EFF11E
	v_cndmask_b32_e64 v28, v248, v250, s[78:79]                // 00000000B9BC: D100001C 013BF5F8
	v_lshrrev_b32_e32 v28, 16, v28                             // 00000000B9C4: 20383890
	v_cmp_u_f32_e64 s[78:79], v31, v31                         // 00000000B9C8: D048004E 00023F1F
	v_bfe_u32 v248, v31, 16, 1                                 // 00000000B9D0: D1C800F8 0205211F
	v_add3_u32 v248, v31, v248, v251                           // 00000000B9D8: D1FF00F8 07EFF11F
	v_cndmask_b32_e64 v29, v248, v250, s[78:79]                // 00000000B9E0: D100001D 013BF5F8
	v_and_or_b32 v160, v29, v249, v28                          // 00000000B9E8: D20100A0 0473F31D
	v_mov_b32_e32 v30, v170                                    // 00000000B9F0: 7E3C03AA
	v_mov_b32_e32 v31, v171                                    // 00000000B9F4: 7E3E03AB
	v_cmp_u_f32_e64 s[78:79], v30, v30                         // 00000000B9F8: D048004E 00023D1E
	v_bfe_u32 v248, v30, 16, 1                                 // 00000000BA00: D1C800F8 0205211E
	v_add3_u32 v248, v30, v248, v251                           // 00000000BA08: D1FF00F8 07EFF11E
	v_cndmask_b32_e64 v28, v248, v250, s[78:79]                // 00000000BA10: D100001C 013BF5F8
	v_lshrrev_b32_e32 v28, 16, v28                             // 00000000BA18: 20383890
	v_cmp_u_f32_e64 s[78:79], v31, v31                         // 00000000BA1C: D048004E 00023F1F
	v_bfe_u32 v248, v31, 16, 1                                 // 00000000BA24: D1C800F8 0205211F
	v_add3_u32 v248, v31, v248, v251                           // 00000000BA2C: D1FF00F8 07EFF11F
	v_cndmask_b32_e64 v29, v248, v250, s[78:79]                // 00000000BA34: D100001D 013BF5F8
	v_and_or_b32 v161, v29, v249, v28                          // 00000000BA3C: D20100A1 0473F31D
	v_mov_b32_e32 v30, v172                                    // 00000000BA44: 7E3C03AC
	v_mov_b32_e32 v31, v173                                    // 00000000BA48: 7E3E03AD
	v_cmp_u_f32_e64 s[78:79], v30, v30                         // 00000000BA4C: D048004E 00023D1E
	v_bfe_u32 v248, v30, 16, 1                                 // 00000000BA54: D1C800F8 0205211E
	v_add3_u32 v248, v30, v248, v251                           // 00000000BA5C: D1FF00F8 07EFF11E
	v_cndmask_b32_e64 v28, v248, v250, s[78:79]                // 00000000BA64: D100001C 013BF5F8
	v_lshrrev_b32_e32 v28, 16, v28                             // 00000000BA6C: 20383890
	v_cmp_u_f32_e64 s[78:79], v31, v31                         // 00000000BA70: D048004E 00023F1F
	v_bfe_u32 v248, v31, 16, 1                                 // 00000000BA78: D1C800F8 0205211F
	v_add3_u32 v248, v31, v248, v251                           // 00000000BA80: D1FF00F8 07EFF11F
	v_cndmask_b32_e64 v29, v248, v250, s[78:79]                // 00000000BA88: D100001D 013BF5F8
	v_and_or_b32 v162, v29, v249, v28                          // 00000000BA90: D20100A2 0473F31D
	v_mov_b32_e32 v30, v174                                    // 00000000BA98: 7E3C03AE
	v_mov_b32_e32 v31, v175                                    // 00000000BA9C: 7E3E03AF
	v_cmp_u_f32_e64 s[78:79], v30, v30                         // 00000000BAA0: D048004E 00023D1E
	v_bfe_u32 v248, v30, 16, 1                                 // 00000000BAA8: D1C800F8 0205211E
	v_add3_u32 v248, v30, v248, v251                           // 00000000BAB0: D1FF00F8 07EFF11E
	v_cndmask_b32_e64 v28, v248, v250, s[78:79]                // 00000000BAB8: D100001C 013BF5F8
	v_lshrrev_b32_e32 v28, 16, v28                             // 00000000BAC0: 20383890
	v_cmp_u_f32_e64 s[78:79], v31, v31                         // 00000000BAC4: D048004E 00023F1F
	v_bfe_u32 v248, v31, 16, 1                                 // 00000000BACC: D1C800F8 0205211F
	v_add3_u32 v248, v31, v248, v251                           // 00000000BAD4: D1FF00F8 07EFF11F
	v_cndmask_b32_e64 v29, v248, v250, s[78:79]                // 00000000BADC: D100001D 013BF5F8
	v_and_or_b32 v163, v29, v249, v28                          // 00000000BAE4: D20100A3 0473F31D
	v_mov_b32_e32 v30, v176                                    // 00000000BAEC: 7E3C03B0
	v_mov_b32_e32 v31, v177                                    // 00000000BAF0: 7E3E03B1
	v_cmp_u_f32_e64 s[78:79], v30, v30                         // 00000000BAF4: D048004E 00023D1E
	v_bfe_u32 v248, v30, 16, 1                                 // 00000000BAFC: D1C800F8 0205211E
	v_add3_u32 v248, v30, v248, v251                           // 00000000BB04: D1FF00F8 07EFF11E
	v_cndmask_b32_e64 v28, v248, v250, s[78:79]                // 00000000BB0C: D100001C 013BF5F8
	v_lshrrev_b32_e32 v28, 16, v28                             // 00000000BB14: 20383890
	v_cmp_u_f32_e64 s[78:79], v31, v31                         // 00000000BB18: D048004E 00023F1F
	v_bfe_u32 v248, v31, 16, 1                                 // 00000000BB20: D1C800F8 0205211F
	v_add3_u32 v248, v31, v248, v251                           // 00000000BB28: D1FF00F8 07EFF11F
	v_cndmask_b32_e64 v29, v248, v250, s[78:79]                // 00000000BB30: D100001D 013BF5F8
	v_and_or_b32 v164, v29, v249, v28                          // 00000000BB38: D20100A4 0473F31D
	v_mov_b32_e32 v30, v178                                    // 00000000BB40: 7E3C03B2
	v_mov_b32_e32 v31, v179                                    // 00000000BB44: 7E3E03B3
	v_cmp_u_f32_e64 s[78:79], v30, v30                         // 00000000BB48: D048004E 00023D1E
	v_bfe_u32 v248, v30, 16, 1                                 // 00000000BB50: D1C800F8 0205211E
	v_add3_u32 v248, v30, v248, v251                           // 00000000BB58: D1FF00F8 07EFF11E
	v_cndmask_b32_e64 v28, v248, v250, s[78:79]                // 00000000BB60: D100001C 013BF5F8
	v_lshrrev_b32_e32 v28, 16, v28                             // 00000000BB68: 20383890
	v_cmp_u_f32_e64 s[78:79], v31, v31                         // 00000000BB6C: D048004E 00023F1F
	v_bfe_u32 v248, v31, 16, 1                                 // 00000000BB74: D1C800F8 0205211F
	v_add3_u32 v248, v31, v248, v251                           // 00000000BB7C: D1FF00F8 07EFF11F
	v_cndmask_b32_e64 v29, v248, v250, s[78:79]                // 00000000BB84: D100001D 013BF5F8
	v_and_or_b32 v165, v29, v249, v28                          // 00000000BB8C: D20100A5 0473F31D
	v_mov_b32_e32 v30, v180                                    // 00000000BB94: 7E3C03B4
	v_mov_b32_e32 v31, v181                                    // 00000000BB98: 7E3E03B5
	v_cmp_u_f32_e64 s[78:79], v30, v30                         // 00000000BB9C: D048004E 00023D1E
	v_bfe_u32 v248, v30, 16, 1                                 // 00000000BBA4: D1C800F8 0205211E
	v_add3_u32 v248, v30, v248, v251                           // 00000000BBAC: D1FF00F8 07EFF11E
	v_cndmask_b32_e64 v28, v248, v250, s[78:79]                // 00000000BBB4: D100001C 013BF5F8
	v_lshrrev_b32_e32 v28, 16, v28                             // 00000000BBBC: 20383890
	v_cmp_u_f32_e64 s[78:79], v31, v31                         // 00000000BBC0: D048004E 00023F1F
	v_bfe_u32 v248, v31, 16, 1                                 // 00000000BBC8: D1C800F8 0205211F
	v_add3_u32 v248, v31, v248, v251                           // 00000000BBD0: D1FF00F8 07EFF11F
	v_cndmask_b32_e64 v29, v248, v250, s[78:79]                // 00000000BBD8: D100001D 013BF5F8
	v_and_or_b32 v166, v29, v249, v28                          // 00000000BBE0: D20100A6 0473F31D
	v_mov_b32_e32 v30, v182                                    // 00000000BBE8: 7E3C03B6
	v_mov_b32_e32 v31, v183                                    // 00000000BBEC: 7E3E03B7
	v_cmp_u_f32_e64 s[78:79], v30, v30                         // 00000000BBF0: D048004E 00023D1E
	v_bfe_u32 v248, v30, 16, 1                                 // 00000000BBF8: D1C800F8 0205211E
	v_add3_u32 v248, v30, v248, v251                           // 00000000BC00: D1FF00F8 07EFF11E
	v_cndmask_b32_e64 v28, v248, v250, s[78:79]                // 00000000BC08: D100001C 013BF5F8
	v_lshrrev_b32_e32 v28, 16, v28                             // 00000000BC10: 20383890
	v_cmp_u_f32_e64 s[78:79], v31, v31                         // 00000000BC14: D048004E 00023F1F
	v_bfe_u32 v248, v31, 16, 1                                 // 00000000BC1C: D1C800F8 0205211F
	v_add3_u32 v248, v31, v248, v251                           // 00000000BC24: D1FF00F8 07EFF11F
	v_cndmask_b32_e64 v29, v248, v250, s[78:79]                // 00000000BC2C: D100001D 013BF5F8
	v_and_or_b32 v167, v29, v249, v28                          // 00000000BC34: D20100A7 0473F31D
	ds_write_b64 v25, v[152:153]                               // 00000000BC3C: D89A0000 00009819
	ds_write_b64 v25, v[154:155] offset:528                    // 00000000BC44: D89A0210 00009A19
	ds_write_b64 v25, v[156:157] offset:1056                   // 00000000BC4C: D89A0420 00009C19
	ds_write_b64 v25, v[158:159] offset:1584                   // 00000000BC54: D89A0630 00009E19
	ds_write_b64 v25, v[160:161] offset:2112                   // 00000000BC5C: D89A0840 0000A019
	ds_write_b64 v25, v[162:163] offset:2640                   // 00000000BC64: D89A0A50 0000A219
	ds_write_b64 v25, v[164:165] offset:3168                   // 00000000BC6C: D89A0C60 0000A419
	ds_write_b64 v25, v[166:167] offset:3696                   // 00000000BC74: D89A0E70 0000A619
	s_waitcnt lgkmcnt(0)                                       // 00000000BC7C: BF8CC07F
	s_barrier                                                  // 00000000BC80: BF8A0000
	ds_read_b64 v[152:153], v24                                // 00000000BC84: D8EC0000 98000018
	ds_read_b64 v[154:155], v24 offset:128                     // 00000000BC8C: D8EC0080 9A000018
	ds_read_b64 v[156:157], v24 offset:32                      // 00000000BC94: D8EC0020 9C000018
	ds_read_b64 v[158:159], v24 offset:160                     // 00000000BC9C: D8EC00A0 9E000018
	ds_read_b64 v[160:161], v24 offset:64                      // 00000000BCA4: D8EC0040 A0000018
	ds_read_b64 v[162:163], v24 offset:192                     // 00000000BCAC: D8EC00C0 A2000018
	ds_read_b64 v[164:165], v24 offset:96                      // 00000000BCB4: D8EC0060 A4000018
	ds_read_b64 v[166:167], v24 offset:224                     // 00000000BCBC: D8EC00E0 A6000018
	s_waitcnt lgkmcnt(0)                                       // 00000000BCC4: BF8CC07F
	s_mov_b32 s70, s53                                         // 00000000BCC8: BEC60035
	s_mov_b64 exec, s[92:93]                                   // 00000000BCCC: BEFE015C
	buffer_store_dwordx4 v[152:155], v6, s[40:43], 0 idxen     // 00000000BCD0: E07C2000 800A9806
	s_mov_b32 exec_lo, -1                                      // 00000000BCD8: BEFE00C1
	s_mov_b32 exec_hi, -1                                      // 00000000BCDC: BEFF00C1
	v_add_u32_e32 v6, s70, v6                                  // 00000000BCE0: 680C0C46
	s_mov_b64 exec, s[92:93]                                   // 00000000BCE4: BEFE015C
	buffer_store_dwordx4 v[156:159], v6, s[40:43], 0 idxen     // 00000000BCE8: E07C2000 800A9C06
	s_mov_b32 exec_lo, -1                                      // 00000000BCF0: BEFE00C1
	s_mov_b32 exec_hi, -1                                      // 00000000BCF4: BEFF00C1
	v_add_u32_e32 v6, s70, v6                                  // 00000000BCF8: 680C0C46
	s_mov_b64 exec, s[92:93]                                   // 00000000BCFC: BEFE015C
	buffer_store_dwordx4 v[160:163], v6, s[40:43], 0 idxen     // 00000000BD00: E07C2000 800AA006
	s_mov_b32 exec_lo, -1                                      // 00000000BD08: BEFE00C1
	s_mov_b32 exec_hi, -1                                      // 00000000BD0C: BEFF00C1
	v_add_u32_e32 v6, s70, v6                                  // 00000000BD10: 680C0C46
	s_mov_b64 exec, s[92:93]                                   // 00000000BD14: BEFE015C
	buffer_store_dwordx4 v[164:167], v6, s[40:43], 0 idxen     // 00000000BD18: E07C2000 800AA406
	s_mov_b32 exec_lo, -1                                      // 00000000BD20: BEFE00C1
	s_mov_b32 exec_hi, -1                                      // 00000000BD24: BEFF00C1
	v_add_u32_e32 v6, s70, v6                                  // 00000000BD28: 680C0C46
	s_mul_i32 s60, 12, s70                                     // 00000000BD2C: 923C468C
	v_add_u32_e32 v6, s60, v6                                  // 00000000BD30: 680C0C3C
	s_cmp_ge_i32 1, s72                                        // 00000000BD34: BF034881
	s_cbranch_scc1 label_2303                                  // 00000000BD38: BF850320
	v_mov_b32_e32 v30, v184                                    // 00000000BD3C: 7E3C03B8
	v_mov_b32_e32 v31, v185                                    // 00000000BD40: 7E3E03B9
	v_cmp_u_f32_e64 s[78:79], v30, v30                         // 00000000BD44: D048004E 00023D1E
	v_bfe_u32 v248, v30, 16, 1                                 // 00000000BD4C: D1C800F8 0205211E
	v_add3_u32 v248, v30, v248, v251                           // 00000000BD54: D1FF00F8 07EFF11E
	v_cndmask_b32_e64 v28, v248, v250, s[78:79]                // 00000000BD5C: D100001C 013BF5F8
	v_lshrrev_b32_e32 v28, 16, v28                             // 00000000BD64: 20383890
	v_cmp_u_f32_e64 s[78:79], v31, v31                         // 00000000BD68: D048004E 00023F1F
	v_bfe_u32 v248, v31, 16, 1                                 // 00000000BD70: D1C800F8 0205211F
	v_add3_u32 v248, v31, v248, v251                           // 00000000BD78: D1FF00F8 07EFF11F
	v_cndmask_b32_e64 v29, v248, v250, s[78:79]                // 00000000BD80: D100001D 013BF5F8
	v_and_or_b32 v168, v29, v249, v28                          // 00000000BD88: D20100A8 0473F31D
	v_mov_b32_e32 v30, v186                                    // 00000000BD90: 7E3C03BA
	v_mov_b32_e32 v31, v187                                    // 00000000BD94: 7E3E03BB
	v_cmp_u_f32_e64 s[78:79], v30, v30                         // 00000000BD98: D048004E 00023D1E
	v_bfe_u32 v248, v30, 16, 1                                 // 00000000BDA0: D1C800F8 0205211E
	v_add3_u32 v248, v30, v248, v251                           // 00000000BDA8: D1FF00F8 07EFF11E
	v_cndmask_b32_e64 v28, v248, v250, s[78:79]                // 00000000BDB0: D100001C 013BF5F8
	v_lshrrev_b32_e32 v28, 16, v28                             // 00000000BDB8: 20383890
	v_cmp_u_f32_e64 s[78:79], v31, v31                         // 00000000BDBC: D048004E 00023F1F
	v_bfe_u32 v248, v31, 16, 1                                 // 00000000BDC4: D1C800F8 0205211F
	v_add3_u32 v248, v31, v248, v251                           // 00000000BDCC: D1FF00F8 07EFF11F
	v_cndmask_b32_e64 v29, v248, v250, s[78:79]                // 00000000BDD4: D100001D 013BF5F8
	v_and_or_b32 v169, v29, v249, v28                          // 00000000BDDC: D20100A9 0473F31D
	v_mov_b32_e32 v30, v188                                    // 00000000BDE4: 7E3C03BC
	v_mov_b32_e32 v31, v189                                    // 00000000BDE8: 7E3E03BD
	v_cmp_u_f32_e64 s[78:79], v30, v30                         // 00000000BDEC: D048004E 00023D1E
	v_bfe_u32 v248, v30, 16, 1                                 // 00000000BDF4: D1C800F8 0205211E
	v_add3_u32 v248, v30, v248, v251                           // 00000000BDFC: D1FF00F8 07EFF11E
	v_cndmask_b32_e64 v28, v248, v250, s[78:79]                // 00000000BE04: D100001C 013BF5F8
	v_lshrrev_b32_e32 v28, 16, v28                             // 00000000BE0C: 20383890
	v_cmp_u_f32_e64 s[78:79], v31, v31                         // 00000000BE10: D048004E 00023F1F
	v_bfe_u32 v248, v31, 16, 1                                 // 00000000BE18: D1C800F8 0205211F
	v_add3_u32 v248, v31, v248, v251                           // 00000000BE20: D1FF00F8 07EFF11F
	v_cndmask_b32_e64 v29, v248, v250, s[78:79]                // 00000000BE28: D100001D 013BF5F8
	v_and_or_b32 v170, v29, v249, v28                          // 00000000BE30: D20100AA 0473F31D
	v_mov_b32_e32 v30, v190                                    // 00000000BE38: 7E3C03BE
	v_mov_b32_e32 v31, v191                                    // 00000000BE3C: 7E3E03BF
	v_cmp_u_f32_e64 s[78:79], v30, v30                         // 00000000BE40: D048004E 00023D1E
	v_bfe_u32 v248, v30, 16, 1                                 // 00000000BE48: D1C800F8 0205211E
	v_add3_u32 v248, v30, v248, v251                           // 00000000BE50: D1FF00F8 07EFF11E
	v_cndmask_b32_e64 v28, v248, v250, s[78:79]                // 00000000BE58: D100001C 013BF5F8
	v_lshrrev_b32_e32 v28, 16, v28                             // 00000000BE60: 20383890
	v_cmp_u_f32_e64 s[78:79], v31, v31                         // 00000000BE64: D048004E 00023F1F
	v_bfe_u32 v248, v31, 16, 1                                 // 00000000BE6C: D1C800F8 0205211F
	v_add3_u32 v248, v31, v248, v251                           // 00000000BE74: D1FF00F8 07EFF11F
	v_cndmask_b32_e64 v29, v248, v250, s[78:79]                // 00000000BE7C: D100001D 013BF5F8
	v_and_or_b32 v171, v29, v249, v28                          // 00000000BE84: D20100AB 0473F31D
	v_mov_b32_e32 v30, v192                                    // 00000000BE8C: 7E3C03C0
	v_mov_b32_e32 v31, v193                                    // 00000000BE90: 7E3E03C1
	v_cmp_u_f32_e64 s[78:79], v30, v30                         // 00000000BE94: D048004E 00023D1E
	v_bfe_u32 v248, v30, 16, 1                                 // 00000000BE9C: D1C800F8 0205211E
	v_add3_u32 v248, v30, v248, v251                           // 00000000BEA4: D1FF00F8 07EFF11E
	v_cndmask_b32_e64 v28, v248, v250, s[78:79]                // 00000000BEAC: D100001C 013BF5F8
	v_lshrrev_b32_e32 v28, 16, v28                             // 00000000BEB4: 20383890
	v_cmp_u_f32_e64 s[78:79], v31, v31                         // 00000000BEB8: D048004E 00023F1F
	v_bfe_u32 v248, v31, 16, 1                                 // 00000000BEC0: D1C800F8 0205211F
	v_add3_u32 v248, v31, v248, v251                           // 00000000BEC8: D1FF00F8 07EFF11F
	v_cndmask_b32_e64 v29, v248, v250, s[78:79]                // 00000000BED0: D100001D 013BF5F8
	v_and_or_b32 v172, v29, v249, v28                          // 00000000BED8: D20100AC 0473F31D
	v_mov_b32_e32 v30, v194                                    // 00000000BEE0: 7E3C03C2
	v_mov_b32_e32 v31, v195                                    // 00000000BEE4: 7E3E03C3
	v_cmp_u_f32_e64 s[78:79], v30, v30                         // 00000000BEE8: D048004E 00023D1E
	v_bfe_u32 v248, v30, 16, 1                                 // 00000000BEF0: D1C800F8 0205211E
	v_add3_u32 v248, v30, v248, v251                           // 00000000BEF8: D1FF00F8 07EFF11E
	v_cndmask_b32_e64 v28, v248, v250, s[78:79]                // 00000000BF00: D100001C 013BF5F8
	v_lshrrev_b32_e32 v28, 16, v28                             // 00000000BF08: 20383890
	v_cmp_u_f32_e64 s[78:79], v31, v31                         // 00000000BF0C: D048004E 00023F1F
	v_bfe_u32 v248, v31, 16, 1                                 // 00000000BF14: D1C800F8 0205211F
	v_add3_u32 v248, v31, v248, v251                           // 00000000BF1C: D1FF00F8 07EFF11F
	v_cndmask_b32_e64 v29, v248, v250, s[78:79]                // 00000000BF24: D100001D 013BF5F8
	v_and_or_b32 v173, v29, v249, v28                          // 00000000BF2C: D20100AD 0473F31D
	v_mov_b32_e32 v30, v196                                    // 00000000BF34: 7E3C03C4
	v_mov_b32_e32 v31, v197                                    // 00000000BF38: 7E3E03C5
	v_cmp_u_f32_e64 s[78:79], v30, v30                         // 00000000BF3C: D048004E 00023D1E
	v_bfe_u32 v248, v30, 16, 1                                 // 00000000BF44: D1C800F8 0205211E
	v_add3_u32 v248, v30, v248, v251                           // 00000000BF4C: D1FF00F8 07EFF11E
	v_cndmask_b32_e64 v28, v248, v250, s[78:79]                // 00000000BF54: D100001C 013BF5F8
	v_lshrrev_b32_e32 v28, 16, v28                             // 00000000BF5C: 20383890
	v_cmp_u_f32_e64 s[78:79], v31, v31                         // 00000000BF60: D048004E 00023F1F
	v_bfe_u32 v248, v31, 16, 1                                 // 00000000BF68: D1C800F8 0205211F
	v_add3_u32 v248, v31, v248, v251                           // 00000000BF70: D1FF00F8 07EFF11F
	v_cndmask_b32_e64 v29, v248, v250, s[78:79]                // 00000000BF78: D100001D 013BF5F8
	v_and_or_b32 v174, v29, v249, v28                          // 00000000BF80: D20100AE 0473F31D
	v_mov_b32_e32 v30, v198                                    // 00000000BF88: 7E3C03C6
	v_mov_b32_e32 v31, v199                                    // 00000000BF8C: 7E3E03C7
	v_cmp_u_f32_e64 s[78:79], v30, v30                         // 00000000BF90: D048004E 00023D1E
	v_bfe_u32 v248, v30, 16, 1                                 // 00000000BF98: D1C800F8 0205211E
	v_add3_u32 v248, v30, v248, v251                           // 00000000BFA0: D1FF00F8 07EFF11E
	v_cndmask_b32_e64 v28, v248, v250, s[78:79]                // 00000000BFA8: D100001C 013BF5F8
	v_lshrrev_b32_e32 v28, 16, v28                             // 00000000BFB0: 20383890
	v_cmp_u_f32_e64 s[78:79], v31, v31                         // 00000000BFB4: D048004E 00023F1F
	v_bfe_u32 v248, v31, 16, 1                                 // 00000000BFBC: D1C800F8 0205211F
	v_add3_u32 v248, v31, v248, v251                           // 00000000BFC4: D1FF00F8 07EFF11F
	v_cndmask_b32_e64 v29, v248, v250, s[78:79]                // 00000000BFCC: D100001D 013BF5F8
	v_and_or_b32 v175, v29, v249, v28                          // 00000000BFD4: D20100AF 0473F31D
	v_mov_b32_e32 v30, v200                                    // 00000000BFDC: 7E3C03C8
	v_mov_b32_e32 v31, v201                                    // 00000000BFE0: 7E3E03C9
	v_cmp_u_f32_e64 s[78:79], v30, v30                         // 00000000BFE4: D048004E 00023D1E
	v_bfe_u32 v248, v30, 16, 1                                 // 00000000BFEC: D1C800F8 0205211E
	v_add3_u32 v248, v30, v248, v251                           // 00000000BFF4: D1FF00F8 07EFF11E
	v_cndmask_b32_e64 v28, v248, v250, s[78:79]                // 00000000BFFC: D100001C 013BF5F8
	v_lshrrev_b32_e32 v28, 16, v28                             // 00000000C004: 20383890
	v_cmp_u_f32_e64 s[78:79], v31, v31                         // 00000000C008: D048004E 00023F1F
	v_bfe_u32 v248, v31, 16, 1                                 // 00000000C010: D1C800F8 0205211F
	v_add3_u32 v248, v31, v248, v251                           // 00000000C018: D1FF00F8 07EFF11F
	v_cndmask_b32_e64 v29, v248, v250, s[78:79]                // 00000000C020: D100001D 013BF5F8
	v_and_or_b32 v176, v29, v249, v28                          // 00000000C028: D20100B0 0473F31D
	v_mov_b32_e32 v30, v202                                    // 00000000C030: 7E3C03CA
	v_mov_b32_e32 v31, v203                                    // 00000000C034: 7E3E03CB
	v_cmp_u_f32_e64 s[78:79], v30, v30                         // 00000000C038: D048004E 00023D1E
	v_bfe_u32 v248, v30, 16, 1                                 // 00000000C040: D1C800F8 0205211E
	v_add3_u32 v248, v30, v248, v251                           // 00000000C048: D1FF00F8 07EFF11E
	v_cndmask_b32_e64 v28, v248, v250, s[78:79]                // 00000000C050: D100001C 013BF5F8
	v_lshrrev_b32_e32 v28, 16, v28                             // 00000000C058: 20383890
	v_cmp_u_f32_e64 s[78:79], v31, v31                         // 00000000C05C: D048004E 00023F1F
	v_bfe_u32 v248, v31, 16, 1                                 // 00000000C064: D1C800F8 0205211F
	v_add3_u32 v248, v31, v248, v251                           // 00000000C06C: D1FF00F8 07EFF11F
	v_cndmask_b32_e64 v29, v248, v250, s[78:79]                // 00000000C074: D100001D 013BF5F8
	v_and_or_b32 v177, v29, v249, v28                          // 00000000C07C: D20100B1 0473F31D
	v_mov_b32_e32 v30, v204                                    // 00000000C084: 7E3C03CC
	v_mov_b32_e32 v31, v205                                    // 00000000C088: 7E3E03CD
	v_cmp_u_f32_e64 s[78:79], v30, v30                         // 00000000C08C: D048004E 00023D1E
	v_bfe_u32 v248, v30, 16, 1                                 // 00000000C094: D1C800F8 0205211E
	v_add3_u32 v248, v30, v248, v251                           // 00000000C09C: D1FF00F8 07EFF11E
	v_cndmask_b32_e64 v28, v248, v250, s[78:79]                // 00000000C0A4: D100001C 013BF5F8
	v_lshrrev_b32_e32 v28, 16, v28                             // 00000000C0AC: 20383890
	v_cmp_u_f32_e64 s[78:79], v31, v31                         // 00000000C0B0: D048004E 00023F1F
	v_bfe_u32 v248, v31, 16, 1                                 // 00000000C0B8: D1C800F8 0205211F
	v_add3_u32 v248, v31, v248, v251                           // 00000000C0C0: D1FF00F8 07EFF11F
	v_cndmask_b32_e64 v29, v248, v250, s[78:79]                // 00000000C0C8: D100001D 013BF5F8
	v_and_or_b32 v178, v29, v249, v28                          // 00000000C0D0: D20100B2 0473F31D
	v_mov_b32_e32 v30, v206                                    // 00000000C0D8: 7E3C03CE
	v_mov_b32_e32 v31, v207                                    // 00000000C0DC: 7E3E03CF
	v_cmp_u_f32_e64 s[78:79], v30, v30                         // 00000000C0E0: D048004E 00023D1E
	v_bfe_u32 v248, v30, 16, 1                                 // 00000000C0E8: D1C800F8 0205211E
	v_add3_u32 v248, v30, v248, v251                           // 00000000C0F0: D1FF00F8 07EFF11E
	v_cndmask_b32_e64 v28, v248, v250, s[78:79]                // 00000000C0F8: D100001C 013BF5F8
	v_lshrrev_b32_e32 v28, 16, v28                             // 00000000C100: 20383890
	v_cmp_u_f32_e64 s[78:79], v31, v31                         // 00000000C104: D048004E 00023F1F
	v_bfe_u32 v248, v31, 16, 1                                 // 00000000C10C: D1C800F8 0205211F
	v_add3_u32 v248, v31, v248, v251                           // 00000000C114: D1FF00F8 07EFF11F
	v_cndmask_b32_e64 v29, v248, v250, s[78:79]                // 00000000C11C: D100001D 013BF5F8
	v_and_or_b32 v179, v29, v249, v28                          // 00000000C124: D20100B3 0473F31D
	v_mov_b32_e32 v30, v208                                    // 00000000C12C: 7E3C03D0
	v_mov_b32_e32 v31, v209                                    // 00000000C130: 7E3E03D1
	v_cmp_u_f32_e64 s[78:79], v30, v30                         // 00000000C134: D048004E 00023D1E
	v_bfe_u32 v248, v30, 16, 1                                 // 00000000C13C: D1C800F8 0205211E
	v_add3_u32 v248, v30, v248, v251                           // 00000000C144: D1FF00F8 07EFF11E
	v_cndmask_b32_e64 v28, v248, v250, s[78:79]                // 00000000C14C: D100001C 013BF5F8
	v_lshrrev_b32_e32 v28, 16, v28                             // 00000000C154: 20383890
	v_cmp_u_f32_e64 s[78:79], v31, v31                         // 00000000C158: D048004E 00023F1F
	v_bfe_u32 v248, v31, 16, 1                                 // 00000000C160: D1C800F8 0205211F
	v_add3_u32 v248, v31, v248, v251                           // 00000000C168: D1FF00F8 07EFF11F
	v_cndmask_b32_e64 v29, v248, v250, s[78:79]                // 00000000C170: D100001D 013BF5F8
	v_and_or_b32 v180, v29, v249, v28                          // 00000000C178: D20100B4 0473F31D
	v_mov_b32_e32 v30, v210                                    // 00000000C180: 7E3C03D2
	v_mov_b32_e32 v31, v211                                    // 00000000C184: 7E3E03D3
	v_cmp_u_f32_e64 s[78:79], v30, v30                         // 00000000C188: D048004E 00023D1E
	v_bfe_u32 v248, v30, 16, 1                                 // 00000000C190: D1C800F8 0205211E
	v_add3_u32 v248, v30, v248, v251                           // 00000000C198: D1FF00F8 07EFF11E
	v_cndmask_b32_e64 v28, v248, v250, s[78:79]                // 00000000C1A0: D100001C 013BF5F8
	v_lshrrev_b32_e32 v28, 16, v28                             // 00000000C1A8: 20383890
	v_cmp_u_f32_e64 s[78:79], v31, v31                         // 00000000C1AC: D048004E 00023F1F
	v_bfe_u32 v248, v31, 16, 1                                 // 00000000C1B4: D1C800F8 0205211F
	v_add3_u32 v248, v31, v248, v251                           // 00000000C1BC: D1FF00F8 07EFF11F
	v_cndmask_b32_e64 v29, v248, v250, s[78:79]                // 00000000C1C4: D100001D 013BF5F8
	v_and_or_b32 v181, v29, v249, v28                          // 00000000C1CC: D20100B5 0473F31D
	v_mov_b32_e32 v30, v212                                    // 00000000C1D4: 7E3C03D4
	v_mov_b32_e32 v31, v213                                    // 00000000C1D8: 7E3E03D5
	v_cmp_u_f32_e64 s[78:79], v30, v30                         // 00000000C1DC: D048004E 00023D1E
	v_bfe_u32 v248, v30, 16, 1                                 // 00000000C1E4: D1C800F8 0205211E
	v_add3_u32 v248, v30, v248, v251                           // 00000000C1EC: D1FF00F8 07EFF11E
	v_cndmask_b32_e64 v28, v248, v250, s[78:79]                // 00000000C1F4: D100001C 013BF5F8
	v_lshrrev_b32_e32 v28, 16, v28                             // 00000000C1FC: 20383890
	v_cmp_u_f32_e64 s[78:79], v31, v31                         // 00000000C200: D048004E 00023F1F
	v_bfe_u32 v248, v31, 16, 1                                 // 00000000C208: D1C800F8 0205211F
	v_add3_u32 v248, v31, v248, v251                           // 00000000C210: D1FF00F8 07EFF11F
	v_cndmask_b32_e64 v29, v248, v250, s[78:79]                // 00000000C218: D100001D 013BF5F8
	v_and_or_b32 v182, v29, v249, v28                          // 00000000C220: D20100B6 0473F31D
	v_mov_b32_e32 v30, v214                                    // 00000000C228: 7E3C03D6
	v_mov_b32_e32 v31, v215                                    // 00000000C22C: 7E3E03D7
	v_cmp_u_f32_e64 s[78:79], v30, v30                         // 00000000C230: D048004E 00023D1E
	v_bfe_u32 v248, v30, 16, 1                                 // 00000000C238: D1C800F8 0205211E
	v_add3_u32 v248, v30, v248, v251                           // 00000000C240: D1FF00F8 07EFF11E
	v_cndmask_b32_e64 v28, v248, v250, s[78:79]                // 00000000C248: D100001C 013BF5F8
	v_lshrrev_b32_e32 v28, 16, v28                             // 00000000C250: 20383890
	v_cmp_u_f32_e64 s[78:79], v31, v31                         // 00000000C254: D048004E 00023F1F
	v_bfe_u32 v248, v31, 16, 1                                 // 00000000C25C: D1C800F8 0205211F
	v_add3_u32 v248, v31, v248, v251                           // 00000000C264: D1FF00F8 07EFF11F
	v_cndmask_b32_e64 v29, v248, v250, s[78:79]                // 00000000C26C: D100001D 013BF5F8
	v_and_or_b32 v183, v29, v249, v28                          // 00000000C274: D20100B7 0473F31D
	ds_write_b64 v25, v[168:169] offset:16896                  // 00000000C27C: D89A4200 0000A819
	ds_write_b64 v25, v[170:171] offset:17424                  // 00000000C284: D89A4410 0000AA19
	ds_write_b64 v25, v[172:173] offset:17952                  // 00000000C28C: D89A4620 0000AC19
	ds_write_b64 v25, v[174:175] offset:18480                  // 00000000C294: D89A4830 0000AE19
	ds_write_b64 v25, v[176:177] offset:19008                  // 00000000C29C: D89A4A40 0000B019
	ds_write_b64 v25, v[178:179] offset:19536                  // 00000000C2A4: D89A4C50 0000B219
	ds_write_b64 v25, v[180:181] offset:20064                  // 00000000C2AC: D89A4E60 0000B419
	ds_write_b64 v25, v[182:183] offset:20592                  // 00000000C2B4: D89A5070 0000B619
	s_waitcnt lgkmcnt(0)                                       // 00000000C2BC: BF8CC07F
	s_barrier                                                  // 00000000C2C0: BF8A0000
	ds_read_b64 v[168:169], v24 offset:16896                   // 00000000C2C4: D8EC4200 A8000018
	ds_read_b64 v[170:171], v24 offset:17024                   // 00000000C2CC: D8EC4280 AA000018
	ds_read_b64 v[172:173], v24 offset:16928                   // 00000000C2D4: D8EC4220 AC000018
	ds_read_b64 v[174:175], v24 offset:17056                   // 00000000C2DC: D8EC42A0 AE000018
	ds_read_b64 v[176:177], v24 offset:16960                   // 00000000C2E4: D8EC4240 B0000018
	ds_read_b64 v[178:179], v24 offset:17088                   // 00000000C2EC: D8EC42C0 B2000018
	ds_read_b64 v[180:181], v24 offset:16992                   // 00000000C2F4: D8EC4260 B4000018
	ds_read_b64 v[182:183], v24 offset:17120                   // 00000000C2FC: D8EC42E0 B6000018
	s_waitcnt lgkmcnt(0)                                       // 00000000C304: BF8CC07F
	s_mov_b32 s70, s53                                         // 00000000C308: BEC60035
	s_mov_b64 exec, s[92:93]                                   // 00000000C30C: BEFE015C
	buffer_store_dwordx4 v[168:171], v6, s[40:43], 0 idxen     // 00000000C310: E07C2000 800AA806
	s_mov_b32 exec_lo, -1                                      // 00000000C318: BEFE00C1
	s_mov_b32 exec_hi, -1                                      // 00000000C31C: BEFF00C1
	v_add_u32_e32 v6, s70, v6                                  // 00000000C320: 680C0C46
	s_mov_b64 exec, s[92:93]                                   // 00000000C324: BEFE015C
	buffer_store_dwordx4 v[172:175], v6, s[40:43], 0 idxen     // 00000000C328: E07C2000 800AAC06
	s_mov_b32 exec_lo, -1                                      // 00000000C330: BEFE00C1
	s_mov_b32 exec_hi, -1                                      // 00000000C334: BEFF00C1
	v_add_u32_e32 v6, s70, v6                                  // 00000000C338: 680C0C46
	s_mov_b64 exec, s[92:93]                                   // 00000000C33C: BEFE015C
	buffer_store_dwordx4 v[176:179], v6, s[40:43], 0 idxen     // 00000000C340: E07C2000 800AB006
	s_mov_b32 exec_lo, -1                                      // 00000000C348: BEFE00C1
	s_mov_b32 exec_hi, -1                                      // 00000000C34C: BEFF00C1
	v_add_u32_e32 v6, s70, v6                                  // 00000000C350: 680C0C46
	s_mov_b64 exec, s[92:93]                                   // 00000000C354: BEFE015C
	buffer_store_dwordx4 v[180:183], v6, s[40:43], 0 idxen     // 00000000C358: E07C2000 800AB406
	s_mov_b32 exec_lo, -1                                      // 00000000C360: BEFE00C1
	s_mov_b32 exec_hi, -1                                      // 00000000C364: BEFF00C1
	v_add_u32_e32 v6, s70, v6                                  // 00000000C368: 680C0C46
	s_mul_i32 s60, 12, s70                                     // 00000000C36C: 923C468C
	v_add_u32_e32 v6, s60, v6                                  // 00000000C370: 680C0C3C
	s_cmp_ge_i32 2, s72                                        // 00000000C374: BF034882
	s_cbranch_scc1 label_2303                                  // 00000000C378: BF850190
	v_mov_b32_e32 v30, v216                                    // 00000000C37C: 7E3C03D8
	v_mov_b32_e32 v31, v217                                    // 00000000C380: 7E3E03D9
	v_cmp_u_f32_e64 s[78:79], v30, v30                         // 00000000C384: D048004E 00023D1E
	v_bfe_u32 v248, v30, 16, 1                                 // 00000000C38C: D1C800F8 0205211E
	v_add3_u32 v248, v30, v248, v251                           // 00000000C394: D1FF00F8 07EFF11E
	v_cndmask_b32_e64 v28, v248, v250, s[78:79]                // 00000000C39C: D100001C 013BF5F8
	v_lshrrev_b32_e32 v28, 16, v28                             // 00000000C3A4: 20383890
	v_cmp_u_f32_e64 s[78:79], v31, v31                         // 00000000C3A8: D048004E 00023F1F
	v_bfe_u32 v248, v31, 16, 1                                 // 00000000C3B0: D1C800F8 0205211F
	v_add3_u32 v248, v31, v248, v251                           // 00000000C3B8: D1FF00F8 07EFF11F
	v_cndmask_b32_e64 v29, v248, v250, s[78:79]                // 00000000C3C0: D100001D 013BF5F8
	v_and_or_b32 v184, v29, v249, v28                          // 00000000C3C8: D20100B8 0473F31D
	v_mov_b32_e32 v30, v218                                    // 00000000C3D0: 7E3C03DA
	v_mov_b32_e32 v31, v219                                    // 00000000C3D4: 7E3E03DB
	v_cmp_u_f32_e64 s[78:79], v30, v30                         // 00000000C3D8: D048004E 00023D1E
	v_bfe_u32 v248, v30, 16, 1                                 // 00000000C3E0: D1C800F8 0205211E
	v_add3_u32 v248, v30, v248, v251                           // 00000000C3E8: D1FF00F8 07EFF11E
	v_cndmask_b32_e64 v28, v248, v250, s[78:79]                // 00000000C3F0: D100001C 013BF5F8
	v_lshrrev_b32_e32 v28, 16, v28                             // 00000000C3F8: 20383890
	v_cmp_u_f32_e64 s[78:79], v31, v31                         // 00000000C3FC: D048004E 00023F1F
	v_bfe_u32 v248, v31, 16, 1                                 // 00000000C404: D1C800F8 0205211F
	v_add3_u32 v248, v31, v248, v251                           // 00000000C40C: D1FF00F8 07EFF11F
	v_cndmask_b32_e64 v29, v248, v250, s[78:79]                // 00000000C414: D100001D 013BF5F8
	v_and_or_b32 v185, v29, v249, v28                          // 00000000C41C: D20100B9 0473F31D
	v_mov_b32_e32 v30, v220                                    // 00000000C424: 7E3C03DC
	v_mov_b32_e32 v31, v221                                    // 00000000C428: 7E3E03DD
	v_cmp_u_f32_e64 s[78:79], v30, v30                         // 00000000C42C: D048004E 00023D1E
	v_bfe_u32 v248, v30, 16, 1                                 // 00000000C434: D1C800F8 0205211E
	v_add3_u32 v248, v30, v248, v251                           // 00000000C43C: D1FF00F8 07EFF11E
	v_cndmask_b32_e64 v28, v248, v250, s[78:79]                // 00000000C444: D100001C 013BF5F8
	v_lshrrev_b32_e32 v28, 16, v28                             // 00000000C44C: 20383890
	v_cmp_u_f32_e64 s[78:79], v31, v31                         // 00000000C450: D048004E 00023F1F
	v_bfe_u32 v248, v31, 16, 1                                 // 00000000C458: D1C800F8 0205211F
	v_add3_u32 v248, v31, v248, v251                           // 00000000C460: D1FF00F8 07EFF11F
	v_cndmask_b32_e64 v29, v248, v250, s[78:79]                // 00000000C468: D100001D 013BF5F8
	v_and_or_b32 v186, v29, v249, v28                          // 00000000C470: D20100BA 0473F31D
	v_mov_b32_e32 v30, v222                                    // 00000000C478: 7E3C03DE
	v_mov_b32_e32 v31, v223                                    // 00000000C47C: 7E3E03DF
	v_cmp_u_f32_e64 s[78:79], v30, v30                         // 00000000C480: D048004E 00023D1E
	v_bfe_u32 v248, v30, 16, 1                                 // 00000000C488: D1C800F8 0205211E
	v_add3_u32 v248, v30, v248, v251                           // 00000000C490: D1FF00F8 07EFF11E
	v_cndmask_b32_e64 v28, v248, v250, s[78:79]                // 00000000C498: D100001C 013BF5F8
	v_lshrrev_b32_e32 v28, 16, v28                             // 00000000C4A0: 20383890
	v_cmp_u_f32_e64 s[78:79], v31, v31                         // 00000000C4A4: D048004E 00023F1F
	v_bfe_u32 v248, v31, 16, 1                                 // 00000000C4AC: D1C800F8 0205211F
	v_add3_u32 v248, v31, v248, v251                           // 00000000C4B4: D1FF00F8 07EFF11F
	v_cndmask_b32_e64 v29, v248, v250, s[78:79]                // 00000000C4BC: D100001D 013BF5F8
	v_and_or_b32 v187, v29, v249, v28                          // 00000000C4C4: D20100BB 0473F31D
	v_mov_b32_e32 v30, v224                                    // 00000000C4CC: 7E3C03E0
	v_mov_b32_e32 v31, v225                                    // 00000000C4D0: 7E3E03E1
	v_cmp_u_f32_e64 s[78:79], v30, v30                         // 00000000C4D4: D048004E 00023D1E
	v_bfe_u32 v248, v30, 16, 1                                 // 00000000C4DC: D1C800F8 0205211E
	v_add3_u32 v248, v30, v248, v251                           // 00000000C4E4: D1FF00F8 07EFF11E
	v_cndmask_b32_e64 v28, v248, v250, s[78:79]                // 00000000C4EC: D100001C 013BF5F8
	v_lshrrev_b32_e32 v28, 16, v28                             // 00000000C4F4: 20383890
	v_cmp_u_f32_e64 s[78:79], v31, v31                         // 00000000C4F8: D048004E 00023F1F
	v_bfe_u32 v248, v31, 16, 1                                 // 00000000C500: D1C800F8 0205211F
	v_add3_u32 v248, v31, v248, v251                           // 00000000C508: D1FF00F8 07EFF11F
	v_cndmask_b32_e64 v29, v248, v250, s[78:79]                // 00000000C510: D100001D 013BF5F8
	v_and_or_b32 v188, v29, v249, v28                          // 00000000C518: D20100BC 0473F31D
	v_mov_b32_e32 v30, v226                                    // 00000000C520: 7E3C03E2
	v_mov_b32_e32 v31, v227                                    // 00000000C524: 7E3E03E3
	v_cmp_u_f32_e64 s[78:79], v30, v30                         // 00000000C528: D048004E 00023D1E
	v_bfe_u32 v248, v30, 16, 1                                 // 00000000C530: D1C800F8 0205211E
	v_add3_u32 v248, v30, v248, v251                           // 00000000C538: D1FF00F8 07EFF11E
	v_cndmask_b32_e64 v28, v248, v250, s[78:79]                // 00000000C540: D100001C 013BF5F8
	v_lshrrev_b32_e32 v28, 16, v28                             // 00000000C548: 20383890
	v_cmp_u_f32_e64 s[78:79], v31, v31                         // 00000000C54C: D048004E 00023F1F
	v_bfe_u32 v248, v31, 16, 1                                 // 00000000C554: D1C800F8 0205211F
	v_add3_u32 v248, v31, v248, v251                           // 00000000C55C: D1FF00F8 07EFF11F
	v_cndmask_b32_e64 v29, v248, v250, s[78:79]                // 00000000C564: D100001D 013BF5F8
	v_and_or_b32 v189, v29, v249, v28                          // 00000000C56C: D20100BD 0473F31D
	v_mov_b32_e32 v30, v228                                    // 00000000C574: 7E3C03E4
	v_mov_b32_e32 v31, v229                                    // 00000000C578: 7E3E03E5
	v_cmp_u_f32_e64 s[78:79], v30, v30                         // 00000000C57C: D048004E 00023D1E
	v_bfe_u32 v248, v30, 16, 1                                 // 00000000C584: D1C800F8 0205211E
	v_add3_u32 v248, v30, v248, v251                           // 00000000C58C: D1FF00F8 07EFF11E
	v_cndmask_b32_e64 v28, v248, v250, s[78:79]                // 00000000C594: D100001C 013BF5F8
	v_lshrrev_b32_e32 v28, 16, v28                             // 00000000C59C: 20383890
	v_cmp_u_f32_e64 s[78:79], v31, v31                         // 00000000C5A0: D048004E 00023F1F
	v_bfe_u32 v248, v31, 16, 1                                 // 00000000C5A8: D1C800F8 0205211F
	v_add3_u32 v248, v31, v248, v251                           // 00000000C5B0: D1FF00F8 07EFF11F
	v_cndmask_b32_e64 v29, v248, v250, s[78:79]                // 00000000C5B8: D100001D 013BF5F8
	v_and_or_b32 v190, v29, v249, v28                          // 00000000C5C0: D20100BE 0473F31D
	v_mov_b32_e32 v30, v230                                    // 00000000C5C8: 7E3C03E6
	v_mov_b32_e32 v31, v231                                    // 00000000C5CC: 7E3E03E7
	v_cmp_u_f32_e64 s[78:79], v30, v30                         // 00000000C5D0: D048004E 00023D1E
	v_bfe_u32 v248, v30, 16, 1                                 // 00000000C5D8: D1C800F8 0205211E
	v_add3_u32 v248, v30, v248, v251                           // 00000000C5E0: D1FF00F8 07EFF11E
	v_cndmask_b32_e64 v28, v248, v250, s[78:79]                // 00000000C5E8: D100001C 013BF5F8
	v_lshrrev_b32_e32 v28, 16, v28                             // 00000000C5F0: 20383890
	v_cmp_u_f32_e64 s[78:79], v31, v31                         // 00000000C5F4: D048004E 00023F1F
	v_bfe_u32 v248, v31, 16, 1                                 // 00000000C5FC: D1C800F8 0205211F
	v_add3_u32 v248, v31, v248, v251                           // 00000000C604: D1FF00F8 07EFF11F
	v_cndmask_b32_e64 v29, v248, v250, s[78:79]                // 00000000C60C: D100001D 013BF5F8
	v_and_or_b32 v191, v29, v249, v28                          // 00000000C614: D20100BF 0473F31D
	v_mov_b32_e32 v30, v232                                    // 00000000C61C: 7E3C03E8
	v_mov_b32_e32 v31, v233                                    // 00000000C620: 7E3E03E9
	v_cmp_u_f32_e64 s[78:79], v30, v30                         // 00000000C624: D048004E 00023D1E
	v_bfe_u32 v248, v30, 16, 1                                 // 00000000C62C: D1C800F8 0205211E
	v_add3_u32 v248, v30, v248, v251                           // 00000000C634: D1FF00F8 07EFF11E
	v_cndmask_b32_e64 v28, v248, v250, s[78:79]                // 00000000C63C: D100001C 013BF5F8
	v_lshrrev_b32_e32 v28, 16, v28                             // 00000000C644: 20383890
	v_cmp_u_f32_e64 s[78:79], v31, v31                         // 00000000C648: D048004E 00023F1F
	v_bfe_u32 v248, v31, 16, 1                                 // 00000000C650: D1C800F8 0205211F
	v_add3_u32 v248, v31, v248, v251                           // 00000000C658: D1FF00F8 07EFF11F
	v_cndmask_b32_e64 v29, v248, v250, s[78:79]                // 00000000C660: D100001D 013BF5F8
	v_and_or_b32 v192, v29, v249, v28                          // 00000000C668: D20100C0 0473F31D
	v_mov_b32_e32 v30, v234                                    // 00000000C670: 7E3C03EA
	v_mov_b32_e32 v31, v235                                    // 00000000C674: 7E3E03EB
	v_cmp_u_f32_e64 s[78:79], v30, v30                         // 00000000C678: D048004E 00023D1E
	v_bfe_u32 v248, v30, 16, 1                                 // 00000000C680: D1C800F8 0205211E
	v_add3_u32 v248, v30, v248, v251                           // 00000000C688: D1FF00F8 07EFF11E
	v_cndmask_b32_e64 v28, v248, v250, s[78:79]                // 00000000C690: D100001C 013BF5F8
	v_lshrrev_b32_e32 v28, 16, v28                             // 00000000C698: 20383890
	v_cmp_u_f32_e64 s[78:79], v31, v31                         // 00000000C69C: D048004E 00023F1F
	v_bfe_u32 v248, v31, 16, 1                                 // 00000000C6A4: D1C800F8 0205211F
	v_add3_u32 v248, v31, v248, v251                           // 00000000C6AC: D1FF00F8 07EFF11F
	v_cndmask_b32_e64 v29, v248, v250, s[78:79]                // 00000000C6B4: D100001D 013BF5F8
	v_and_or_b32 v193, v29, v249, v28                          // 00000000C6BC: D20100C1 0473F31D
	v_mov_b32_e32 v30, v236                                    // 00000000C6C4: 7E3C03EC
	v_mov_b32_e32 v31, v237                                    // 00000000C6C8: 7E3E03ED
	v_cmp_u_f32_e64 s[78:79], v30, v30                         // 00000000C6CC: D048004E 00023D1E
	v_bfe_u32 v248, v30, 16, 1                                 // 00000000C6D4: D1C800F8 0205211E
	v_add3_u32 v248, v30, v248, v251                           // 00000000C6DC: D1FF00F8 07EFF11E
	v_cndmask_b32_e64 v28, v248, v250, s[78:79]                // 00000000C6E4: D100001C 013BF5F8
	v_lshrrev_b32_e32 v28, 16, v28                             // 00000000C6EC: 20383890
	v_cmp_u_f32_e64 s[78:79], v31, v31                         // 00000000C6F0: D048004E 00023F1F
	v_bfe_u32 v248, v31, 16, 1                                 // 00000000C6F8: D1C800F8 0205211F
	v_add3_u32 v248, v31, v248, v251                           // 00000000C700: D1FF00F8 07EFF11F
	v_cndmask_b32_e64 v29, v248, v250, s[78:79]                // 00000000C708: D100001D 013BF5F8
	v_and_or_b32 v194, v29, v249, v28                          // 00000000C710: D20100C2 0473F31D
	v_mov_b32_e32 v30, v238                                    // 00000000C718: 7E3C03EE
	v_mov_b32_e32 v31, v239                                    // 00000000C71C: 7E3E03EF
	v_cmp_u_f32_e64 s[78:79], v30, v30                         // 00000000C720: D048004E 00023D1E
	v_bfe_u32 v248, v30, 16, 1                                 // 00000000C728: D1C800F8 0205211E
	v_add3_u32 v248, v30, v248, v251                           // 00000000C730: D1FF00F8 07EFF11E
	v_cndmask_b32_e64 v28, v248, v250, s[78:79]                // 00000000C738: D100001C 013BF5F8
	v_lshrrev_b32_e32 v28, 16, v28                             // 00000000C740: 20383890
	v_cmp_u_f32_e64 s[78:79], v31, v31                         // 00000000C744: D048004E 00023F1F
	v_bfe_u32 v248, v31, 16, 1                                 // 00000000C74C: D1C800F8 0205211F
	v_add3_u32 v248, v31, v248, v251                           // 00000000C754: D1FF00F8 07EFF11F
	v_cndmask_b32_e64 v29, v248, v250, s[78:79]                // 00000000C75C: D100001D 013BF5F8
	v_and_or_b32 v195, v29, v249, v28                          // 00000000C764: D20100C3 0473F31D
	v_mov_b32_e32 v30, v240                                    // 00000000C76C: 7E3C03F0
	v_mov_b32_e32 v31, v241                                    // 00000000C770: 7E3E03F1
	v_cmp_u_f32_e64 s[78:79], v30, v30                         // 00000000C774: D048004E 00023D1E
	v_bfe_u32 v248, v30, 16, 1                                 // 00000000C77C: D1C800F8 0205211E
	v_add3_u32 v248, v30, v248, v251                           // 00000000C784: D1FF00F8 07EFF11E
	v_cndmask_b32_e64 v28, v248, v250, s[78:79]                // 00000000C78C: D100001C 013BF5F8
	v_lshrrev_b32_e32 v28, 16, v28                             // 00000000C794: 20383890
	v_cmp_u_f32_e64 s[78:79], v31, v31                         // 00000000C798: D048004E 00023F1F
	v_bfe_u32 v248, v31, 16, 1                                 // 00000000C7A0: D1C800F8 0205211F
	v_add3_u32 v248, v31, v248, v251                           // 00000000C7A8: D1FF00F8 07EFF11F
	v_cndmask_b32_e64 v29, v248, v250, s[78:79]                // 00000000C7B0: D100001D 013BF5F8
	v_and_or_b32 v196, v29, v249, v28                          // 00000000C7B8: D20100C4 0473F31D
	v_mov_b32_e32 v30, v242                                    // 00000000C7C0: 7E3C03F2
	v_mov_b32_e32 v31, v243                                    // 00000000C7C4: 7E3E03F3
	v_cmp_u_f32_e64 s[78:79], v30, v30                         // 00000000C7C8: D048004E 00023D1E
	v_bfe_u32 v248, v30, 16, 1                                 // 00000000C7D0: D1C800F8 0205211E
	v_add3_u32 v248, v30, v248, v251                           // 00000000C7D8: D1FF00F8 07EFF11E
	v_cndmask_b32_e64 v28, v248, v250, s[78:79]                // 00000000C7E0: D100001C 013BF5F8
	v_lshrrev_b32_e32 v28, 16, v28                             // 00000000C7E8: 20383890
	v_cmp_u_f32_e64 s[78:79], v31, v31                         // 00000000C7EC: D048004E 00023F1F
	v_bfe_u32 v248, v31, 16, 1                                 // 00000000C7F4: D1C800F8 0205211F
	v_add3_u32 v248, v31, v248, v251                           // 00000000C7FC: D1FF00F8 07EFF11F
	v_cndmask_b32_e64 v29, v248, v250, s[78:79]                // 00000000C804: D100001D 013BF5F8
	v_and_or_b32 v197, v29, v249, v28                          // 00000000C80C: D20100C5 0473F31D
	v_mov_b32_e32 v30, v244                                    // 00000000C814: 7E3C03F4
	v_mov_b32_e32 v31, v245                                    // 00000000C818: 7E3E03F5
	v_cmp_u_f32_e64 s[78:79], v30, v30                         // 00000000C81C: D048004E 00023D1E
	v_bfe_u32 v248, v30, 16, 1                                 // 00000000C824: D1C800F8 0205211E
	v_add3_u32 v248, v30, v248, v251                           // 00000000C82C: D1FF00F8 07EFF11E
	v_cndmask_b32_e64 v28, v248, v250, s[78:79]                // 00000000C834: D100001C 013BF5F8
	v_lshrrev_b32_e32 v28, 16, v28                             // 00000000C83C: 20383890
	v_cmp_u_f32_e64 s[78:79], v31, v31                         // 00000000C840: D048004E 00023F1F
	v_bfe_u32 v248, v31, 16, 1                                 // 00000000C848: D1C800F8 0205211F
	v_add3_u32 v248, v31, v248, v251                           // 00000000C850: D1FF00F8 07EFF11F
	v_cndmask_b32_e64 v29, v248, v250, s[78:79]                // 00000000C858: D100001D 013BF5F8
	v_and_or_b32 v198, v29, v249, v28                          // 00000000C860: D20100C6 0473F31D
	v_mov_b32_e32 v30, v246                                    // 00000000C868: 7E3C03F6
	v_mov_b32_e32 v31, v247                                    // 00000000C86C: 7E3E03F7
	v_cmp_u_f32_e64 s[78:79], v30, v30                         // 00000000C870: D048004E 00023D1E
	v_bfe_u32 v248, v30, 16, 1                                 // 00000000C878: D1C800F8 0205211E
	v_add3_u32 v248, v30, v248, v251                           // 00000000C880: D1FF00F8 07EFF11E
	v_cndmask_b32_e64 v28, v248, v250, s[78:79]                // 00000000C888: D100001C 013BF5F8
	v_lshrrev_b32_e32 v28, 16, v28                             // 00000000C890: 20383890
	v_cmp_u_f32_e64 s[78:79], v31, v31                         // 00000000C894: D048004E 00023F1F
	v_bfe_u32 v248, v31, 16, 1                                 // 00000000C89C: D1C800F8 0205211F
	v_add3_u32 v248, v31, v248, v251                           // 00000000C8A4: D1FF00F8 07EFF11F
	v_cndmask_b32_e64 v29, v248, v250, s[78:79]                // 00000000C8AC: D100001D 013BF5F8
	v_and_or_b32 v199, v29, v249, v28                          // 00000000C8B4: D20100C7 0473F31D
	ds_write_b64 v25, v[184:185] offset:33792                  // 00000000C8BC: D89A8400 0000B819
	ds_write_b64 v25, v[186:187] offset:34320                  // 00000000C8C4: D89A8610 0000BA19
	ds_write_b64 v25, v[188:189] offset:34848                  // 00000000C8CC: D89A8820 0000BC19
	ds_write_b64 v25, v[190:191] offset:35376                  // 00000000C8D4: D89A8A30 0000BE19
	ds_write_b64 v25, v[192:193] offset:35904                  // 00000000C8DC: D89A8C40 0000C019
	ds_write_b64 v25, v[194:195] offset:36432                  // 00000000C8E4: D89A8E50 0000C219
	ds_write_b64 v25, v[196:197] offset:36960                  // 00000000C8EC: D89A9060 0000C419
	ds_write_b64 v25, v[198:199] offset:37488                  // 00000000C8F4: D89A9270 0000C619
	s_waitcnt lgkmcnt(0)                                       // 00000000C8FC: BF8CC07F
	s_barrier                                                  // 00000000C900: BF8A0000
	ds_read_b64 v[184:185], v24 offset:33792                   // 00000000C904: D8EC8400 B8000018
	ds_read_b64 v[186:187], v24 offset:33920                   // 00000000C90C: D8EC8480 BA000018
	ds_read_b64 v[188:189], v24 offset:33824                   // 00000000C914: D8EC8420 BC000018
	ds_read_b64 v[190:191], v24 offset:33952                   // 00000000C91C: D8EC84A0 BE000018
	ds_read_b64 v[192:193], v24 offset:33856                   // 00000000C924: D8EC8440 C0000018
	ds_read_b64 v[194:195], v24 offset:33984                   // 00000000C92C: D8EC84C0 C2000018
	ds_read_b64 v[196:197], v24 offset:33888                   // 00000000C934: D8EC8460 C4000018
	ds_read_b64 v[198:199], v24 offset:34016                   // 00000000C93C: D8EC84E0 C6000018
	s_waitcnt lgkmcnt(0)                                       // 00000000C944: BF8CC07F
	s_mov_b32 s70, s53                                         // 00000000C948: BEC60035
	s_mov_b64 exec, s[92:93]                                   // 00000000C94C: BEFE015C
	buffer_store_dwordx4 v[184:187], v6, s[40:43], 0 idxen     // 00000000C950: E07C2000 800AB806
	s_mov_b32 exec_lo, -1                                      // 00000000C958: BEFE00C1
	s_mov_b32 exec_hi, -1                                      // 00000000C95C: BEFF00C1
	v_add_u32_e32 v6, s70, v6                                  // 00000000C960: 680C0C46
	s_mov_b64 exec, s[92:93]                                   // 00000000C964: BEFE015C
	buffer_store_dwordx4 v[188:191], v6, s[40:43], 0 idxen     // 00000000C968: E07C2000 800ABC06
	s_mov_b32 exec_lo, -1                                      // 00000000C970: BEFE00C1
	s_mov_b32 exec_hi, -1                                      // 00000000C974: BEFF00C1
	v_add_u32_e32 v6, s70, v6                                  // 00000000C978: 680C0C46
	s_mov_b64 exec, s[92:93]                                   // 00000000C97C: BEFE015C
	buffer_store_dwordx4 v[192:195], v6, s[40:43], 0 idxen     // 00000000C980: E07C2000 800AC006
	s_mov_b32 exec_lo, -1                                      // 00000000C988: BEFE00C1
	s_mov_b32 exec_hi, -1                                      // 00000000C98C: BEFF00C1
	v_add_u32_e32 v6, s70, v6                                  // 00000000C990: 680C0C46
	s_mov_b64 exec, s[92:93]                                   // 00000000C994: BEFE015C
	buffer_store_dwordx4 v[196:199], v6, s[40:43], 0 idxen     // 00000000C998: E07C2000 800AC406
	s_mov_b32 exec_lo, -1                                      // 00000000C9A0: BEFE00C1
	s_mov_b32 exec_hi, -1                                      // 00000000C9A4: BEFF00C1
	v_add_u32_e32 v6, s70, v6                                  // 00000000C9A8: 680C0C46
	s_mul_i32 s60, 12, s70                                     // 00000000C9AC: 923C468C
	v_add_u32_e32 v6, s60, v6                                  // 00000000C9B0: 680C0C3C
	s_cmp_ge_i32 3, s72                                        // 00000000C9B4: BF034883
	s_cbranch_scc1 label_2303                                  // 00000000C9B8: BF850000

000000000000c9bc <label_2303>:
	s_waitcnt vmcnt(0) expcnt(0) lgkmcnt(0)                    // 00000000C9BC: BF8C0000
	s_sub_i32 s60, s77, 1                                      // 00000000C9C0: 81BC814D
	s_sub_i32 s2, s60, s2                                      // 00000000C9C4: 8182023C
	s_addk_i32 s75, 0x1                                        // 00000000C9C8: B74B0001
	s_cmp_lt_i32 s75, s76                                      // 00000000C9CC: BF044C4B
	s_cbranch_scc1 label_0162                                  // 00000000C9D0: BF85DE6D
	s_endpgm                                                   // 00000000C9D4: BF810000
